;; amdgpu-corpus repo=ROCm/rocFFT kind=compiled arch=gfx1201 opt=O3
	.text
	.amdgcn_target "amdgcn-amd-amdhsa--gfx1201"
	.amdhsa_code_object_version 6
	.protected	bluestein_single_fwd_len1701_dim1_half_op_CI_CI ; -- Begin function bluestein_single_fwd_len1701_dim1_half_op_CI_CI
	.globl	bluestein_single_fwd_len1701_dim1_half_op_CI_CI
	.p2align	8
	.type	bluestein_single_fwd_len1701_dim1_half_op_CI_CI,@function
bluestein_single_fwd_len1701_dim1_half_op_CI_CI: ; @bluestein_single_fwd_len1701_dim1_half_op_CI_CI
; %bb.0:
	s_load_b128 s[12:15], s[0:1], 0x28
	v_mul_u32_u24_e32 v1, 0x411, v0
	s_mov_b32 s2, exec_lo
	v_mov_b32_e32 v17, 0
	s_delay_alu instid0(VALU_DEP_2) | instskip(NEXT) | instid1(VALU_DEP_1)
	v_lshrrev_b32_e32 v1, 16, v1
	v_add_nc_u32_e32 v16, ttmp9, v1
	s_wait_kmcnt 0x0
	s_delay_alu instid0(VALU_DEP_1)
	v_cmpx_gt_u64_e64 s[12:13], v[16:17]
	s_cbranch_execz .LBB0_10
; %bb.1:
	s_clause 0x1
	s_load_b128 s[4:7], s[0:1], 0x18
	s_load_b128 s[8:11], s[0:1], 0x0
	v_mul_lo_u16 v1, v1, 63
	s_delay_alu instid0(VALU_DEP_1) | instskip(NEXT) | instid1(VALU_DEP_1)
	v_sub_nc_u16 v15, v0, v1
	v_and_b32_e32 v156, 0xffff, v15
	s_wait_kmcnt 0x0
	s_load_b128 s[16:19], s[4:5], 0x0
	s_movk_i32 s4, 0xef44
	s_mov_b32 s5, -1
	s_wait_kmcnt 0x0
	v_mad_co_u64_u32 v[0:1], null, s18, v16, 0
	v_mad_co_u64_u32 v[2:3], null, s16, v156, 0
	s_mul_u64 s[2:3], s[16:17], 0x8dc
	s_mul_u64 s[4:5], s[16:17], s[4:5]
	s_delay_alu instid0(VALU_DEP_1) | instskip(NEXT) | instid1(VALU_DEP_1)
	v_mad_co_u64_u32 v[4:5], null, s19, v16, v[1:2]
	v_mov_b32_e32 v1, v4
	s_delay_alu instid0(VALU_DEP_3) | instskip(SKIP_1) | instid1(VALU_DEP_3)
	v_mad_co_u64_u32 v[5:6], null, s17, v156, v[3:4]
	v_add_co_u32 v177, null, 0xbd, v156
	v_lshlrev_b64_e32 v[0:1], 2, v[0:1]
	s_delay_alu instid0(VALU_DEP_3) | instskip(NEXT) | instid1(VALU_DEP_2)
	v_dual_mov_b32 v3, v5 :: v_dual_lshlrev_b32 v116, 2, v156
	v_add_co_u32 v0, vcc_lo, s14, v0
	s_delay_alu instid0(VALU_DEP_3) | instskip(NEXT) | instid1(VALU_DEP_3)
	v_add_co_ci_u32_e32 v1, vcc_lo, s15, v1, vcc_lo
	v_lshlrev_b64_e32 v[2:3], 2, v[2:3]
	global_load_b32 v160, v116, s[8:9]
	v_add_nc_u32_e32 v95, 0xa00, v116
	v_add_nc_u32_e32 v96, 0x200, v116
	;; [unrolled: 1-line block ×4, first 2 shown]
	v_add_co_u32 v0, vcc_lo, v0, v2
	s_wait_alu 0xfffd
	v_add_co_ci_u32_e32 v1, vcc_lo, v1, v3, vcc_lo
	v_add_nc_u32_e32 v94, 0x600, v116
	s_delay_alu instid0(VALU_DEP_3) | instskip(SKIP_1) | instid1(VALU_DEP_3)
	v_add_co_u32 v5, vcc_lo, v0, s2
	s_wait_alu 0xfffd
	v_add_co_ci_u32_e32 v6, vcc_lo, s3, v1, vcc_lo
	global_load_b32 v2, v[0:1], off
	s_clause 0x1
	global_load_b32 v158, v116, s[8:9] offset:4536
	global_load_b32 v161, v116, s[8:9] offset:2268
	global_load_b32 v4, v[5:6], off
	v_add_co_u32 v0, vcc_lo, v5, s2
	s_wait_alu 0xfffd
	v_add_co_ci_u32_e32 v1, vcc_lo, s3, v6, vcc_lo
	global_load_b32 v155, v116, s[8:9] offset:252
	v_add_nc_u32_e32 v104, 0x1200, v116
	v_add_nc_u32_e32 v97, 0x1600, v116
	global_load_b32 v5, v[0:1], off
	v_add_co_u32 v0, vcc_lo, v0, s4
	s_wait_alu 0xfffd
	v_add_co_ci_u32_e32 v1, vcc_lo, s5, v1, vcc_lo
	global_load_b32 v3, v[0:1], off
	s_clause 0xa
	global_load_b32 v164, v116, s[8:9] offset:2520
	global_load_b32 v153, v116, s[8:9] offset:2772
	;; [unrolled: 1-line block ×11, first 2 shown]
	v_add_co_u32 v0, vcc_lo, v0, s2
	s_wait_alu 0xfffd
	v_add_co_ci_u32_e32 v1, vcc_lo, s3, v1, vcc_lo
	s_clause 0x7
	global_load_b32 v159, v116, s[8:9] offset:504
	global_load_b32 v150, v116, s[8:9] offset:756
	global_load_b32 v61, v116, s[8:9] offset:1008
	global_load_b32 v58, v116, s[8:9] offset:1260
	global_load_b32 v55, v116, s[8:9] offset:1512
	global_load_b32 v52, v116, s[8:9] offset:1764
	global_load_b32 v48, v116, s[8:9] offset:4284
	global_load_b32 v51, v116, s[8:9] offset:2016
	global_load_b32 v14, v[0:1], off
	v_add_co_u32 v0, vcc_lo, v0, s2
	s_wait_alu 0xfffd
	v_add_co_ci_u32_e32 v1, vcc_lo, s3, v1, vcc_lo
	s_wait_loadcnt 0x1b
	v_lshrrev_b32_e32 v8, 16, v160
	s_wait_loadcnt 0x1a
	v_lshrrev_b32_e32 v6, 16, v2
	s_delay_alu instid0(VALU_DEP_2)
	v_mul_f16_e32 v7, v8, v2
	s_wait_loadcnt 0x18
	v_lshrrev_b32_e32 v11, 16, v161
	s_wait_loadcnt 0x17
	v_lshrrev_b32_e32 v9, 16, v4
	v_lshrrev_b32_e32 v12, 16, v158
	v_mul_f16_e32 v8, v8, v6
	v_fma_f16 v6, v160, v6, -v7
	v_mul_f16_e32 v10, v11, v4
	s_delay_alu instid0(VALU_DEP_3)
	v_fmac_f16_e64 v8, v160, v2
	v_mul_f16_e32 v2, v11, v9
	s_wait_loadcnt 0x15
	v_lshrrev_b32_e32 v7, 16, v5
	v_fma_f16 v9, v161, v9, -v10
	v_mul_f16_e32 v10, v12, v5
	v_lshrrev_b32_e32 v11, 16, v155
	v_pack_b32_f16 v8, v8, v6
	v_fmac_f16_e64 v2, v161, v4
	v_mul_f16_e32 v6, v12, v7
	v_fma_f16 v7, v158, v7, -v10
	s_wait_loadcnt 0x14
	v_lshrrev_b32_e32 v4, 16, v3
	v_mul_f16_e32 v10, v11, v3
	v_pack_b32_f16 v9, v2, v9
	v_fmac_f16_e64 v6, v158, v5
	s_delay_alu instid0(VALU_DEP_4) | instskip(NEXT) | instid1(VALU_DEP_4)
	v_mul_f16_e32 v11, v11, v4
	v_fma_f16 v10, v155, v4, -v10
	v_add_co_u32 v4, vcc_lo, v0, s4
	s_wait_alu 0xfffd
	v_add_co_ci_u32_e32 v5, vcc_lo, s5, v1, vcc_lo
	v_fmac_f16_e64 v11, v155, v3
	s_delay_alu instid0(VALU_DEP_3) | instskip(SKIP_1) | instid1(VALU_DEP_3)
	v_add_co_u32 v2, vcc_lo, v4, s2
	s_wait_alu 0xfffd
	v_add_co_ci_u32_e32 v3, vcc_lo, s3, v5, vcc_lo
	v_pack_b32_f16 v12, v6, v7
	s_delay_alu instid0(VALU_DEP_3)
	v_add_co_u32 v6, vcc_lo, v2, s2
	ds_store_b32 v116, v9 offset:2268
	v_pack_b32_f16 v9, v11, v10
	s_wait_alu 0xfffd
	v_add_co_ci_u32_e32 v7, vcc_lo, s3, v3, vcc_lo
	ds_store_b32 v116, v12 offset:4536
	ds_store_2addr_b32 v116, v8, v9 offset1:63
	v_add_co_u32 v8, vcc_lo, v6, s4
	s_wait_alu 0xfffd
	v_add_co_ci_u32_e32 v9, vcc_lo, s5, v7, vcc_lo
	s_delay_alu instid0(VALU_DEP_2) | instskip(SKIP_1) | instid1(VALU_DEP_2)
	v_add_co_u32 v10, vcc_lo, v8, s2
	s_wait_alu 0xfffd
	v_add_co_ci_u32_e32 v11, vcc_lo, s3, v9, vcc_lo
	s_delay_alu instid0(VALU_DEP_2) | instskip(SKIP_1) | instid1(VALU_DEP_2)
	;; [unrolled: 4-line block ×15, first 2 shown]
	v_add_co_u32 v42, vcc_lo, v25, s4
	s_wait_alu 0xfffd
	v_add_co_ci_u32_e32 v43, vcc_lo, s5, v26, vcc_lo
	global_load_b32 v27, v[25:26], off
	v_add_co_u32 v44, vcc_lo, v42, s2
	s_wait_alu 0xfffd
	v_add_co_ci_u32_e32 v45, vcc_lo, s3, v43, vcc_lo
	s_delay_alu instid0(VALU_DEP_2) | instskip(SKIP_1) | instid1(VALU_DEP_2)
	v_add_co_u32 v25, vcc_lo, v44, s2
	s_wait_alu 0xfffd
	v_add_co_ci_u32_e32 v26, vcc_lo, s3, v45, vcc_lo
	global_load_b32 v25, v[25:26], off
	s_clause 0x2
	global_load_b32 v47, v116, s[8:9] offset:6300
	global_load_b32 v49, v116, s[8:9] offset:6552
	;; [unrolled: 1-line block ×3, first 2 shown]
	global_load_b32 v2, v[2:3], off
	v_cmp_gt_u16_e32 vcc_lo, 18, v15
	s_wait_loadcnt 0x6
	v_lshrrev_b32_e32 v3, 16, v14
	s_wait_loadcnt 0x5
	v_lshrrev_b32_e32 v26, 16, v27
	s_wait_loadcnt 0x3
	v_lshrrev_b32_e32 v50, 16, v47
	s_wait_loadcnt 0x2
	scratch_store_b32 off, v49, off offset:4 ; 4-byte Folded Spill
	v_mul_f16_e32 v46, v50, v27
	scratch_store_b32 off, v50, off offset:24 ; 4-byte Folded Spill
	v_fma_f16 v46, v47, v26, -v46
	v_mul_f16_e32 v26, v50, v26
	v_lshrrev_b32_e32 v50, 16, v49
	scratch_store_b32 off, v47, off offset:20 ; 4-byte Folded Spill
	v_fmac_f16_e32 v26, v47, v27
	scratch_store_b32 off, v50, off offset:8 ; 4-byte Folded Spill
	v_lshrrev_b32_e32 v27, 16, v25
	v_mul_f16_e32 v47, v50, v25
	s_delay_alu instid0(VALU_DEP_1) | instskip(SKIP_1) | instid1(VALU_DEP_1)
	v_fma_f16 v47, v49, v27, -v47
	v_mul_f16_e32 v27, v50, v27
	v_fmac_f16_e32 v27, v49, v25
	v_pack_b32_f16 v25, v26, v46
	s_delay_alu instid0(VALU_DEP_2) | instskip(SKIP_4) | instid1(VALU_DEP_2)
	v_pack_b32_f16 v26, v27, v47
	v_add_nc_u32_e32 v27, 0x1800, v116
	ds_store_2addr_b32 v27, v25, v26 offset0:39 offset1:102
	v_lshrrev_b32_e32 v26, 16, v164
	v_lshrrev_b32_e32 v27, 16, v153
	v_mul_f16_e32 v25, v26, v14
	s_delay_alu instid0(VALU_DEP_1) | instskip(SKIP_3) | instid1(VALU_DEP_2)
	v_fma_f16 v25, v164, v3, -v25
	v_mul_f16_e32 v3, v26, v3
	s_wait_loadcnt 0x0
	v_mul_f16_e32 v26, v27, v2
	v_fmac_f16_e64 v3, v164, v14
	v_lshrrev_b32_e32 v14, 16, v2
	s_delay_alu instid0(VALU_DEP_1) | instskip(SKIP_2) | instid1(VALU_DEP_2)
	v_fma_f16 v26, v153, v14, -v26
	v_mul_f16_e32 v14, v27, v14
	v_add_nc_u32_e32 v27, 0x1400, v116
	v_fmac_f16_e64 v14, v153, v2
	v_pack_b32_f16 v2, v3, v25
	v_add_nc_u32_e32 v25, 0x800, v116
	s_delay_alu instid0(VALU_DEP_3)
	v_pack_b32_f16 v3, v14, v26
	v_add_nc_u32_e32 v26, 0x1000, v116
	ds_store_2addr_b32 v25, v2, v3 offset0:118 offset1:181
	global_load_b32 v0, v[0:1], off
	global_load_b32 v1, v[6:7], off
	v_lshrrev_b32_e32 v6, 16, v163
	v_lshrrev_b32_e32 v7, 16, v152
	s_wait_loadcnt 0x1
	v_lshrrev_b32_e32 v2, 16, v0
	s_delay_alu instid0(VALU_DEP_3) | instskip(NEXT) | instid1(VALU_DEP_1)
	v_mul_f16_e32 v3, v6, v0
	v_fma_f16 v3, v163, v2, -v3
	v_mul_f16_e32 v2, v6, v2
	s_wait_loadcnt 0x0
	v_mul_f16_e32 v6, v7, v1
	s_delay_alu instid0(VALU_DEP_2) | instskip(SKIP_1) | instid1(VALU_DEP_1)
	v_fmac_f16_e64 v2, v163, v0
	v_lshrrev_b32_e32 v0, 16, v1
	v_fma_f16 v6, v152, v0, -v6
	v_mul_f16_e32 v0, v7, v0
	s_delay_alu instid0(VALU_DEP_1) | instskip(SKIP_1) | instid1(VALU_DEP_2)
	v_fmac_f16_e64 v0, v152, v1
	v_pack_b32_f16 v1, v2, v3
	v_pack_b32_f16 v0, v0, v6
	ds_store_2addr_b32 v26, v1, v0 offset0:173 offset1:236
	global_load_b32 v0, v[4:5], off
	global_load_b32 v1, v[8:9], off
	v_lshrrev_b32_e32 v4, 16, v159
	v_lshrrev_b32_e32 v5, 16, v150
	s_wait_loadcnt 0x1
	v_lshrrev_b32_e32 v2, 16, v0
	s_delay_alu instid0(VALU_DEP_3) | instskip(NEXT) | instid1(VALU_DEP_1)
	v_mul_f16_e32 v3, v4, v0
	v_fma_f16 v3, v159, v2, -v3
	v_mul_f16_e32 v2, v4, v2
	s_wait_loadcnt 0x0
	v_mul_f16_e32 v4, v5, v1
	s_delay_alu instid0(VALU_DEP_2) | instskip(SKIP_1) | instid1(VALU_DEP_1)
	v_fmac_f16_e64 v2, v159, v0
	v_lshrrev_b32_e32 v0, 16, v1
	v_fma_f16 v4, v150, v0, -v4
	v_mul_f16_e32 v0, v5, v0
	v_lshrrev_b32_e32 v5, 16, v60
	s_delay_alu instid0(VALU_DEP_2) | instskip(SKIP_1) | instid1(VALU_DEP_2)
	v_fmac_f16_e64 v0, v150, v1
	v_pack_b32_f16 v1, v2, v3
	v_pack_b32_f16 v0, v0, v4
	v_lshrrev_b32_e32 v4, 16, v63
	ds_store_2addr_b32 v116, v1, v0 offset0:126 offset1:189
	global_load_b32 v0, v[10:11], off
	global_load_b32 v1, v[19:20], off
	s_clause 0x3
	scratch_store_b32 off, v4, off offset:132
	scratch_store_b32 off, v63, off offset:120
	scratch_store_b32 off, v5, off offset:112
	scratch_store_b32 off, v60, off offset:96
	s_wait_loadcnt 0x1
	v_lshrrev_b32_e32 v2, 16, v0
	v_mul_f16_e32 v3, v4, v0
	s_delay_alu instid0(VALU_DEP_1) | instskip(SKIP_3) | instid1(VALU_DEP_2)
	v_fma_f16 v3, v63, v2, -v3
	v_mul_f16_e32 v2, v4, v2
	s_wait_loadcnt 0x0
	v_mul_f16_e32 v4, v5, v1
	v_fmac_f16_e32 v2, v63, v0
	v_lshrrev_b32_e32 v0, 16, v1
	s_delay_alu instid0(VALU_DEP_1) | instskip(SKIP_2) | instid1(VALU_DEP_2)
	v_fma_f16 v4, v60, v0, -v4
	v_mul_f16_e32 v0, v5, v0
	v_lshrrev_b32_e32 v5, 16, v59
	v_fmac_f16_e32 v0, v60, v1
	v_pack_b32_f16 v1, v2, v3
	s_delay_alu instid0(VALU_DEP_2)
	v_pack_b32_f16 v0, v0, v4
	v_lshrrev_b32_e32 v4, 16, v62
	ds_store_2addr_b32 v95, v1, v0 offset0:116 offset1:179
	global_load_b32 v0, v[12:13], off
	global_load_b32 v1, v[21:22], off
	s_clause 0x3
	scratch_store_b32 off, v4, off offset:128
	scratch_store_b32 off, v62, off offset:116
	scratch_store_b32 off, v5, off offset:104
	scratch_store_b32 off, v59, off offset:92
	s_wait_loadcnt 0x1
	v_lshrrev_b32_e32 v2, 16, v0
	v_mul_f16_e32 v3, v4, v0
	s_delay_alu instid0(VALU_DEP_1) | instskip(SKIP_3) | instid1(VALU_DEP_2)
	v_fma_f16 v3, v62, v2, -v3
	v_mul_f16_e32 v2, v4, v2
	s_wait_loadcnt 0x0
	v_mul_f16_e32 v4, v5, v1
	v_fmac_f16_e32 v2, v62, v0
	v_lshrrev_b32_e32 v0, 16, v1
	s_delay_alu instid0(VALU_DEP_1) | instskip(SKIP_2) | instid1(VALU_DEP_2)
	v_fma_f16 v4, v59, v0, -v4
	v_mul_f16_e32 v0, v5, v0
	v_lshrrev_b32_e32 v5, 16, v58
	v_fmac_f16_e32 v0, v59, v1
	v_pack_b32_f16 v1, v2, v3
	s_delay_alu instid0(VALU_DEP_2)
	v_pack_b32_f16 v0, v0, v4
	v_lshrrev_b32_e32 v4, 16, v61
	ds_store_2addr_b32 v27, v1, v0 offset0:43 offset1:106
	global_load_b32 v0, v[17:18], off
	global_load_b32 v1, v[23:24], off
	s_clause 0x3
	scratch_store_b32 off, v4, off offset:124
	scratch_store_b32 off, v61, off offset:108
	scratch_store_b32 off, v5, off offset:100
	scratch_store_b32 off, v58, off offset:84
	s_wait_loadcnt 0x1
	v_lshrrev_b32_e32 v2, 16, v0
	v_mul_f16_e32 v3, v4, v0
	s_delay_alu instid0(VALU_DEP_1) | instskip(SKIP_3) | instid1(VALU_DEP_2)
	v_fma_f16 v3, v61, v2, -v3
	v_mul_f16_e32 v2, v4, v2
	s_wait_loadcnt 0x0
	v_mul_f16_e32 v4, v5, v1
	v_fmac_f16_e32 v2, v61, v0
	v_lshrrev_b32_e32 v0, 16, v1
	s_delay_alu instid0(VALU_DEP_1) | instskip(SKIP_2) | instid1(VALU_DEP_2)
	v_fma_f16 v4, v58, v0, -v4
	v_mul_f16_e32 v0, v5, v0
	v_lshrrev_b32_e32 v5, 16, v53
	v_fmac_f16_e32 v0, v58, v1
	v_pack_b32_f16 v1, v2, v3
	s_delay_alu instid0(VALU_DEP_2)
	v_pack_b32_f16 v0, v0, v4
	v_lshrrev_b32_e32 v4, 16, v57
	ds_store_2addr_b32 v96, v1, v0 offset0:124 offset1:187
	global_load_b32 v0, v[28:29], off
	global_load_b32 v1, v[34:35], off
	s_clause 0x3
	scratch_store_b32 off, v4, off offset:88
	scratch_store_b32 off, v57, off offset:72
	;; [unrolled: 1-line block ×4, first 2 shown]
	v_add_nc_u32_e32 v28, 0xc00, v116
	s_wait_loadcnt 0x1
	v_lshrrev_b32_e32 v2, 16, v0
	v_mul_f16_e32 v3, v4, v0
	s_delay_alu instid0(VALU_DEP_1) | instskip(SKIP_3) | instid1(VALU_DEP_2)
	v_fma_f16 v3, v57, v2, -v3
	v_mul_f16_e32 v2, v4, v2
	s_wait_loadcnt 0x0
	v_mul_f16_e32 v4, v5, v1
	v_fmac_f16_e32 v2, v57, v0
	v_lshrrev_b32_e32 v0, 16, v1
	s_delay_alu instid0(VALU_DEP_1) | instskip(SKIP_2) | instid1(VALU_DEP_2)
	v_fma_f16 v4, v53, v0, -v4
	v_mul_f16_e32 v0, v5, v0
	v_lshrrev_b32_e32 v5, 16, v54
	v_fmac_f16_e32 v0, v53, v1
	v_pack_b32_f16 v1, v2, v3
	s_delay_alu instid0(VALU_DEP_2)
	v_pack_b32_f16 v0, v0, v4
	v_lshrrev_b32_e32 v4, 16, v56
	ds_store_2addr_b32 v28, v1, v0 offset0:114 offset1:177
	global_load_b32 v0, v[30:31], off
	global_load_b32 v1, v[36:37], off
	s_clause 0x3
	scratch_store_b32 off, v4, off offset:80
	scratch_store_b32 off, v56, off offset:68
	;; [unrolled: 1-line block ×4, first 2 shown]
	s_wait_loadcnt 0x1
	v_lshrrev_b32_e32 v2, 16, v0
	v_mul_f16_e32 v3, v4, v0
	s_delay_alu instid0(VALU_DEP_1) | instskip(SKIP_3) | instid1(VALU_DEP_2)
	v_fma_f16 v3, v56, v2, -v3
	v_mul_f16_e32 v2, v4, v2
	s_wait_loadcnt 0x0
	v_mul_f16_e32 v4, v5, v1
	v_fmac_f16_e32 v2, v56, v0
	v_lshrrev_b32_e32 v0, 16, v1
	s_delay_alu instid0(VALU_DEP_1) | instskip(SKIP_2) | instid1(VALU_DEP_2)
	v_fma_f16 v4, v54, v0, -v4
	v_mul_f16_e32 v0, v5, v0
	v_lshrrev_b32_e32 v5, 16, v52
	v_fmac_f16_e32 v0, v54, v1
	v_pack_b32_f16 v1, v2, v3
	s_delay_alu instid0(VALU_DEP_2)
	v_pack_b32_f16 v0, v0, v4
	v_lshrrev_b32_e32 v4, 16, v55
	ds_store_2addr_b32 v27, v1, v0 offset0:169 offset1:232
	global_load_b32 v0, v[32:33], off
	global_load_b32 v1, v[38:39], off
	s_clause 0x3
	scratch_store_b32 off, v4, off offset:76
	scratch_store_b32 off, v55, off offset:60
	;; [unrolled: 1-line block ×4, first 2 shown]
	s_wait_loadcnt 0x1
	v_lshrrev_b32_e32 v2, 16, v0
	v_mul_f16_e32 v3, v4, v0
	s_delay_alu instid0(VALU_DEP_1) | instskip(SKIP_3) | instid1(VALU_DEP_2)
	v_fma_f16 v3, v55, v2, -v3
	v_mul_f16_e32 v2, v4, v2
	s_wait_loadcnt 0x0
	v_mul_f16_e32 v4, v5, v1
	v_fmac_f16_e32 v2, v55, v0
	v_lshrrev_b32_e32 v0, 16, v1
	s_delay_alu instid0(VALU_DEP_1) | instskip(SKIP_1) | instid1(VALU_DEP_1)
	v_fma_f16 v4, v52, v0, -v4
	v_mul_f16_e32 v0, v5, v0
	v_fmac_f16_e32 v0, v52, v1
	v_pack_b32_f16 v1, v2, v3
	s_delay_alu instid0(VALU_DEP_2)
	v_pack_b32_f16 v0, v0, v4
	ds_store_2addr_b32 v173, v1, v0 offset0:122 offset1:185
	global_load_b32 v0, v[40:41], off
	global_load_b32 v1, v[44:45], off
	global_load_b32 v4, v116, s[8:9] offset:4032
	s_clause 0x1
	scratch_store_b32 off, v48, off
	scratch_store_b32 off, v51, off offset:12
	s_load_b128 s[4:7], s[6:7], 0x0
	s_wait_loadcnt 0x2
	v_lshrrev_b32_e32 v2, 16, v0
	s_wait_loadcnt 0x0
	v_lshrrev_b32_e32 v5, 16, v4
	scratch_store_b32 off, v4, off offset:36 ; 4-byte Folded Spill
	v_mul_f16_e32 v3, v5, v0
	scratch_store_b32 off, v5, off offset:40 ; 4-byte Folded Spill
	v_fma_f16 v3, v4, v2, -v3
	v_mul_f16_e32 v2, v5, v2
	v_lshrrev_b32_e32 v5, 16, v48
	s_delay_alu instid0(VALU_DEP_2) | instskip(SKIP_1) | instid1(VALU_DEP_3)
	v_fmac_f16_e32 v2, v4, v0
	v_lshrrev_b32_e32 v0, 16, v1
	v_mul_f16_e32 v4, v5, v1
	s_delay_alu instid0(VALU_DEP_1) | instskip(SKIP_1) | instid1(VALU_DEP_1)
	v_fma_f16 v4, v48, v0, -v4
	v_mul_f16_e32 v0, v5, v0
	v_fmac_f16_e32 v0, v48, v1
	v_pack_b32_f16 v1, v2, v3
	v_lshrrev_b32_e32 v3, 16, v51
	scratch_store_b32 off, v5, off offset:16 ; 4-byte Folded Spill
	v_pack_b32_f16 v0, v0, v4
	scratch_store_b32 off, v3, off offset:28 ; 4-byte Folded Spill
	ds_store_2addr_b32 v93, v1, v0 offset0:112 offset1:175
	global_load_b32 v0, v[42:43], off
	s_wait_loadcnt 0x0
	v_lshrrev_b32_e32 v1, 16, v0
	v_mul_f16_e32 v2, v3, v0
	s_delay_alu instid0(VALU_DEP_1) | instskip(SKIP_1) | instid1(VALU_DEP_1)
	v_fma_f16 v2, v51, v1, -v2
	v_mul_f16_e32 v1, v3, v1
	v_fmac_f16_e32 v1, v51, v0
	s_delay_alu instid0(VALU_DEP_1)
	v_pack_b32_f16 v0, v1, v2
	ds_store_b32 v116, v0 offset:2016
	global_wb scope:SCOPE_SE
	s_wait_storecnt_dscnt 0x0
	s_wait_kmcnt 0x0
	s_barrier_signal -1
	s_barrier_wait -1
	global_inv scope:SCOPE_SE
	ds_load_2addr_b32 v[29:30], v26 offset0:110 offset1:173
	ds_load_2addr_b32 v[0:1], v94 offset0:120 offset1:183
	ds_load_2addr_b32 v[23:24], v116 offset1:63
	s_wait_dscnt 0x1
	v_pk_add_f16 v2, v1, v29
	v_pk_add_f16 v3, v1, v29 neg_lo:[0,1] neg_hi:[0,1]
	s_wait_dscnt 0x0
	v_pk_add_f16 v1, v23, v1
	s_delay_alu instid0(VALU_DEP_3) | instskip(NEXT) | instid1(VALU_DEP_3)
	v_pk_fma_f16 v2, v2, 0.5, v23 op_sel_hi:[1,0,1] neg_lo:[1,0,0] neg_hi:[1,0,0]
	v_pk_mul_f16 v3, 0x3aee, v3 op_sel_hi:[0,1]
	s_delay_alu instid0(VALU_DEP_3) | instskip(NEXT) | instid1(VALU_DEP_2)
	v_pk_add_f16 v29, v1, v29
	v_pk_add_f16 v4, v2, v3 op_sel:[0,1] op_sel_hi:[1,0]
	v_pk_add_f16 v2, v2, v3 op_sel:[0,1] op_sel_hi:[1,0] neg_lo:[0,1] neg_hi:[0,1]
	s_delay_alu instid0(VALU_DEP_1) | instskip(SKIP_2) | instid1(VALU_DEP_1)
	v_bfi_b32 v31, 0xffff, v4, v2
	v_bfi_b32 v32, 0xffff, v2, v4
	v_mul_lo_u16 v2, v15, 3
	v_and_b32_e32 v2, 0xffff, v2
	s_delay_alu instid0(VALU_DEP_1)
	v_lshlrev_b32_e32 v33, 2, v2
	ds_load_b32 v23, v116 offset:6552
	ds_load_2addr_b32 v[21:22], v25 offset0:118 offset1:181
	ds_load_2addr_b32 v[19:20], v116 offset0:126 offset1:189
	;; [unrolled: 1-line block ×10, first 2 shown]
	global_wb scope:SCOPE_SE
	s_wait_dscnt 0x0
	s_barrier_signal -1
	s_barrier_wait -1
	global_inv scope:SCOPE_SE
	ds_store_2addr_b32 v33, v29, v31 offset1:1
	ds_store_b32 v33, v32 offset:8
	scratch_store_b32 off, v33, off offset:136 ; 4-byte Folded Spill
	v_pk_add_f16 v29, v21, v30
	s_delay_alu instid0(VALU_DEP_1) | instskip(SKIP_2) | instid1(VALU_DEP_2)
	v_pk_fma_f16 v29, v29, 0.5, v24 op_sel_hi:[1,0,1] neg_lo:[1,0,0] neg_hi:[1,0,0]
	v_pk_add_f16 v24, v24, v21
	v_pk_add_f16 v21, v21, v30 neg_lo:[0,1] neg_hi:[0,1]
	v_pk_add_f16 v24, v24, v30
	s_delay_alu instid0(VALU_DEP_2) | instskip(NEXT) | instid1(VALU_DEP_1)
	v_pk_mul_f16 v21, 0x3aee, v21 op_sel_hi:[0,1]
	v_pk_add_f16 v31, v29, v21 op_sel:[0,1] op_sel_hi:[1,0]
	v_pk_add_f16 v21, v29, v21 op_sel:[0,1] op_sel_hi:[1,0] neg_lo:[0,1] neg_hi:[0,1]
	v_add_co_u32 v29, s2, v156, 63
	s_delay_alu instid0(VALU_DEP_2) | instskip(NEXT) | instid1(VALU_DEP_2)
	v_bfi_b32 v30, 0xffff, v31, v21
	v_mul_u32_u24_e32 v32, 3, v29
	v_bfi_b32 v21, 0xffff, v21, v31
	s_wait_alu 0xf1ff
	v_add_co_ci_u32_e64 v31, null, 0, 0, s2
	s_delay_alu instid0(VALU_DEP_3) | instskip(SKIP_4) | instid1(VALU_DEP_2)
	v_lshlrev_b32_e32 v169, 2, v32
	ds_store_2addr_b32 v169, v24, v30 offset1:1
	ds_store_b32 v169, v21 offset:8
	v_pk_add_f16 v24, v22, v17
	v_pk_add_f16 v30, v22, v17 neg_lo:[0,1] neg_hi:[0,1]
	v_pk_fma_f16 v24, v24, 0.5, v19 op_sel_hi:[1,0,1] neg_lo:[1,0,0] neg_hi:[1,0,0]
	s_delay_alu instid0(VALU_DEP_2) | instskip(SKIP_1) | instid1(VALU_DEP_2)
	v_pk_mul_f16 v30, 0x3aee, v30 op_sel_hi:[0,1]
	v_pk_add_f16 v19, v19, v22
	v_pk_add_f16 v32, v24, v30 op_sel:[0,1] op_sel_hi:[1,0]
	v_pk_add_f16 v24, v24, v30 op_sel:[0,1] op_sel_hi:[1,0] neg_lo:[0,1] neg_hi:[0,1]
	v_add_co_u32 v30, null, 0x7e, v156
	s_delay_alu instid0(VALU_DEP_4) | instskip(SKIP_1) | instid1(VALU_DEP_4)
	v_pk_add_f16 v17, v19, v17
	v_pk_add_f16 v19, v20, v13
	v_bfi_b32 v22, 0xffff, v32, v24
	s_delay_alu instid0(VALU_DEP_4) | instskip(SKIP_1) | instid1(VALU_DEP_4)
	v_mul_u32_u24_e32 v21, 3, v30
	v_bfi_b32 v24, 0xffff, v24, v32
	v_pk_add_f16 v19, v19, v18
	s_delay_alu instid0(VALU_DEP_3) | instskip(SKIP_4) | instid1(VALU_DEP_2)
	v_lshlrev_b32_e32 v167, 2, v21
	ds_store_2addr_b32 v167, v17, v22 offset1:1
	ds_store_b32 v167, v24 offset:8
	v_pk_add_f16 v17, v13, v18
	v_pk_add_f16 v13, v13, v18 neg_lo:[0,1] neg_hi:[0,1]
	v_pk_fma_f16 v17, v17, 0.5, v20 op_sel_hi:[1,0,1] neg_lo:[1,0,0] neg_hi:[1,0,0]
	s_delay_alu instid0(VALU_DEP_2) | instskip(NEXT) | instid1(VALU_DEP_1)
	v_pk_mul_f16 v13, 0x3aee, v13 op_sel_hi:[0,1]
	v_pk_add_f16 v18, v17, v13 op_sel:[0,1] op_sel_hi:[1,0]
	v_pk_add_f16 v13, v17, v13 op_sel:[0,1] op_sel_hi:[1,0] neg_lo:[0,1] neg_hi:[0,1]
	s_delay_alu instid0(VALU_DEP_1) | instskip(SKIP_2) | instid1(VALU_DEP_1)
	v_bfi_b32 v17, 0xffff, v18, v13
	v_bfi_b32 v13, 0xffff, v13, v18
	v_mul_u32_u24_e32 v18, 3, v177
	v_lshlrev_b32_e32 v171, 2, v18
	v_pk_add_f16 v18, v14, v9 neg_lo:[0,1] neg_hi:[0,1]
	ds_store_2addr_b32 v171, v19, v17 offset1:1
	ds_store_b32 v171, v13 offset:8
	v_pk_add_f16 v17, v14, v9
	v_pk_mul_f16 v18, 0x3aee, v18 op_sel_hi:[0,1]
	v_pk_add_f16 v14, v11, v14
	s_delay_alu instid0(VALU_DEP_3) | instskip(SKIP_1) | instid1(VALU_DEP_3)
	v_pk_fma_f16 v17, v17, 0.5, v11 op_sel_hi:[1,0,1] neg_lo:[1,0,0] neg_hi:[1,0,0]
	v_add_co_u32 v11, null, 0xfc, v156
	v_pk_add_f16 v9, v14, v9
	s_delay_alu instid0(VALU_DEP_3) | instskip(SKIP_1) | instid1(VALU_DEP_4)
	v_pk_add_f16 v19, v17, v18 op_sel:[0,1] op_sel_hi:[1,0]
	v_pk_add_f16 v17, v17, v18 op_sel:[0,1] op_sel_hi:[1,0] neg_lo:[0,1] neg_hi:[0,1]
	v_mul_u32_u24_e32 v13, 3, v11
	s_delay_alu instid0(VALU_DEP_2) | instskip(NEXT) | instid1(VALU_DEP_2)
	v_bfi_b32 v18, 0xffff, v19, v17
	v_lshlrev_b32_e32 v168, 2, v13
	v_bfi_b32 v17, 0xffff, v17, v19
	ds_store_2addr_b32 v168, v9, v18 offset1:1
	ds_store_b32 v168, v17 offset:8
	v_pk_add_f16 v9, v7, v10
	s_delay_alu instid0(VALU_DEP_1) | instskip(SKIP_2) | instid1(VALU_DEP_2)
	v_pk_fma_f16 v9, v9, 0.5, v12 op_sel_hi:[1,0,1] neg_lo:[1,0,0] neg_hi:[1,0,0]
	v_pk_add_f16 v12, v12, v7
	v_pk_add_f16 v7, v7, v10 neg_lo:[0,1] neg_hi:[0,1]
	v_pk_add_f16 v12, v12, v10
	s_delay_alu instid0(VALU_DEP_2) | instskip(NEXT) | instid1(VALU_DEP_1)
	v_pk_mul_f16 v7, 0x3aee, v7 op_sel_hi:[0,1]
	v_pk_add_f16 v10, v9, v7 op_sel:[0,1] op_sel_hi:[1,0]
	v_pk_add_f16 v7, v9, v7 op_sel:[0,1] op_sel_hi:[1,0] neg_lo:[0,1] neg_hi:[0,1]
	s_delay_alu instid0(VALU_DEP_1) | instskip(SKIP_2) | instid1(VALU_DEP_1)
	v_bfi_b32 v9, 0xffff, v10, v7
	v_bfi_b32 v10, 0xffff, v7, v10
	v_add_co_u32 v7, null, 0x13b, v156
	v_mul_u32_u24_e32 v13, 3, v7
	s_delay_alu instid0(VALU_DEP_1)
	v_lshlrev_b32_e32 v172, 2, v13
	ds_store_2addr_b32 v172, v12, v9 offset1:1
	ds_store_b32 v172, v10 offset:8
	v_pk_add_f16 v9, v8, v3
	v_pk_add_f16 v12, v8, v3 neg_lo:[0,1] neg_hi:[0,1]
	v_pk_add_f16 v8, v5, v8
	s_delay_alu instid0(VALU_DEP_3) | instskip(NEXT) | instid1(VALU_DEP_3)
	v_pk_fma_f16 v9, v9, 0.5, v5 op_sel_hi:[1,0,1] neg_lo:[1,0,0] neg_hi:[1,0,0]
	v_pk_mul_f16 v12, 0x3aee, v12 op_sel_hi:[0,1]
	v_add_co_u32 v5, null, 0x17a, v156
	s_delay_alu instid0(VALU_DEP_4) | instskip(NEXT) | instid1(VALU_DEP_3)
	v_pk_add_f16 v3, v8, v3
	v_pk_add_f16 v13, v9, v12 op_sel:[0,1] op_sel_hi:[1,0]
	v_pk_add_f16 v9, v9, v12 op_sel:[0,1] op_sel_hi:[1,0] neg_lo:[0,1] neg_hi:[0,1]
	s_delay_alu instid0(VALU_DEP_4) | instskip(NEXT) | instid1(VALU_DEP_2)
	v_mul_u32_u24_e32 v10, 3, v5
	v_bfi_b32 v12, 0xffff, v13, v9
	s_delay_alu instid0(VALU_DEP_2)
	v_lshlrev_b32_e32 v170, 2, v10
	v_bfi_b32 v9, 0xffff, v9, v13
	v_and_b32_e32 v13, 0xff, v29
	ds_store_2addr_b32 v170, v3, v12 offset1:1
	ds_store_b32 v170, v9 offset:8
	v_pk_add_f16 v3, v1, v4
	v_and_b32_e32 v12, 0xff, v15
	s_delay_alu instid0(VALU_DEP_2) | instskip(SKIP_2) | instid1(VALU_DEP_2)
	v_pk_fma_f16 v3, v3, 0.5, v6 op_sel_hi:[1,0,1] neg_lo:[1,0,0] neg_hi:[1,0,0]
	v_pk_add_f16 v6, v6, v1
	v_pk_add_f16 v1, v1, v4 neg_lo:[0,1] neg_hi:[0,1]
	v_pk_add_f16 v6, v6, v4
	s_delay_alu instid0(VALU_DEP_2) | instskip(NEXT) | instid1(VALU_DEP_1)
	v_pk_mul_f16 v1, 0x3aee, v1 op_sel_hi:[0,1]
	v_pk_add_f16 v4, v3, v1 op_sel:[0,1] op_sel_hi:[1,0]
	v_pk_add_f16 v1, v3, v1 op_sel:[0,1] op_sel_hi:[1,0] neg_lo:[0,1] neg_hi:[0,1]
	s_delay_alu instid0(VALU_DEP_1) | instskip(SKIP_2) | instid1(VALU_DEP_1)
	v_bfi_b32 v3, 0xffff, v4, v1
	v_bfi_b32 v4, 0xffff, v1, v4
	v_add_co_u32 v1, null, 0x1b9, v156
	v_mul_u32_u24_e32 v8, 3, v1
	s_delay_alu instid0(VALU_DEP_1) | instskip(SKIP_3) | instid1(VALU_DEP_1)
	v_lshlrev_b32_e32 v117, 2, v8
	ds_store_2addr_b32 v117, v6, v3 offset1:1
	ds_store_b32 v117, v4 offset:8
	v_pk_add_f16 v3, v2, v23
	v_pk_fma_f16 v3, v3, 0.5, v0 op_sel_hi:[1,0,1] neg_lo:[1,0,0] neg_hi:[1,0,0]
	v_pk_add_f16 v0, v0, v2
	v_pk_add_f16 v2, v2, v23 neg_lo:[0,1] neg_hi:[0,1]
	s_delay_alu instid0(VALU_DEP_2) | instskip(NEXT) | instid1(VALU_DEP_2)
	v_pk_add_f16 v0, v0, v23
	v_pk_mul_f16 v2, 0x3aee, v2 op_sel_hi:[0,1]
	s_delay_alu instid0(VALU_DEP_1) | instskip(SKIP_1) | instid1(VALU_DEP_1)
	v_pk_add_f16 v6, v3, v2 op_sel:[0,1] op_sel_hi:[1,0]
	v_pk_add_f16 v2, v3, v2 op_sel:[0,1] op_sel_hi:[1,0] neg_lo:[0,1] neg_hi:[0,1]
	v_bfi_b32 v3, 0xffff, v6, v2
	v_bfi_b32 v6, 0xffff, v2, v6
	v_add_co_u32 v2, null, 0x1f8, v156
	s_delay_alu instid0(VALU_DEP_1) | instskip(NEXT) | instid1(VALU_DEP_1)
	v_mul_u32_u24_e32 v4, 3, v2
	v_lshlrev_b32_e32 v120, 2, v4
	ds_store_2addr_b32 v120, v0, v3 offset1:1
	ds_store_b32 v120, v6 offset:8
	v_mul_lo_u16 v0, 0xab, v12
	global_wb scope:SCOPE_SE
	s_wait_storecnt_dscnt 0x0
	s_barrier_signal -1
	s_barrier_wait -1
	global_inv scope:SCOPE_SE
	v_lshrrev_b16 v4, 9, v0
	v_mul_lo_u16 v0, 0xab, v13
	s_delay_alu instid0(VALU_DEP_1) | instskip(NEXT) | instid1(VALU_DEP_3)
	v_lshrrev_b16 v14, 9, v0
	v_mul_lo_u16 v0, v4, 3
	v_and_b32_e32 v4, 0xffff, v4
	s_delay_alu instid0(VALU_DEP_3) | instskip(NEXT) | instid1(VALU_DEP_3)
	v_mul_lo_u16 v3, v14, 3
	v_sub_nc_u16 v0, v15, v0
	s_delay_alu instid0(VALU_DEP_3) | instskip(SKIP_1) | instid1(VALU_DEP_4)
	v_mul_u32_u24_e32 v4, 9, v4
	v_and_b32_e32 v14, 0xffff, v14
	v_sub_nc_u16 v6, v29, v3
	v_and_b32_e32 v3, 0xff, v30
	v_and_b32_e32 v10, 0xff, v0
	v_and_b32_e32 v0, 0xff, v177
	v_mul_u32_u24_e32 v14, 9, v14
	v_and_b32_e32 v46, 0xff, v6
	v_mul_lo_u16 v8, 0xab, v3
	v_add_lshl_u32 v242, v4, v10, 2
	v_mul_lo_u16 v6, 0xab, v0
	s_delay_alu instid0(VALU_DEP_4) | instskip(NEXT) | instid1(VALU_DEP_4)
	v_add_lshl_u32 v247, v14, v46, 2
	v_lshrrev_b16 v24, 9, v8
	s_delay_alu instid0(VALU_DEP_3) | instskip(NEXT) | instid1(VALU_DEP_2)
	v_lshrrev_b16 v47, 9, v6
	v_mul_lo_u16 v6, v24, 3
	s_delay_alu instid0(VALU_DEP_2) | instskip(NEXT) | instid1(VALU_DEP_2)
	v_mul_lo_u16 v8, v47, 3
	v_sub_nc_u16 v6, v30, v6
	s_delay_alu instid0(VALU_DEP_2) | instskip(NEXT) | instid1(VALU_DEP_2)
	v_sub_nc_u16 v8, v177, v8
	v_and_b32_e32 v48, 0xff, v6
	v_lshlrev_b32_e32 v6, 3, v10
	s_delay_alu instid0(VALU_DEP_3)
	v_and_b32_e32 v49, 0xff, v8
	v_and_b32_e32 v10, 0xffff, v11
	global_load_b64 v[75:76], v6, s[10:11]
	v_lshlrev_b32_e32 v6, 3, v46
	v_lshlrev_b32_e32 v8, 3, v49
	global_load_b64 v[77:78], v6, s[10:11]
	v_lshlrev_b32_e32 v6, 3, v48
	s_clause 0x1
	global_load_b64 v[79:80], v6, s[10:11]
	global_load_b64 v[81:82], v8, s[10:11]
	ds_load_2addr_b32 v[8:9], v26 offset0:110 offset1:173
	s_wait_dscnt 0x0
	v_lshrrev_b32_e32 v6, 16, v8
	s_wait_loadcnt 0x3
	v_lshrrev_b32_e32 v137, 16, v76
	v_lshrrev_b32_e32 v145, 16, v75
	s_delay_alu instid0(VALU_DEP_2)
	v_mul_f16_e64 v17, v6, v137
	s_wait_loadcnt 0x2
	v_lshrrev_b32_e32 v139, 16, v78
	v_lshrrev_b32_e32 v142, 16, v77
	v_mul_f16_e64 v22, v8, v137
	v_fma_f16 v21, v8, v76, -v17
	v_lshrrev_b32_e32 v17, 16, v9
	v_mul_f16_e64 v51, v9, v139
	s_delay_alu instid0(VALU_DEP_4)
	v_fmac_f16_e32 v22, v6, v76
	s_wait_loadcnt 0x0
	v_lshrrev_b32_e32 v162, 16, v82
	v_lshrrev_b32_e32 v165, 16, v81
	v_mul_f16_e64 v18, v17, v139
	v_fmac_f16_e32 v51, v17, v78
	v_lshrrev_b32_e32 v154, 16, v79
	v_lshrrev_b32_e32 v157, 16, v80
	s_delay_alu instid0(VALU_DEP_4) | instskip(SKIP_4) | instid1(VALU_DEP_1)
	v_fma_f16 v50, v9, v78, -v18
	ds_load_2addr_b32 v[17:18], v25 offset0:118 offset1:181
	s_wait_dscnt 0x0
	v_lshrrev_b32_e32 v8, 16, v17
	v_mul_f16_e64 v19, v17, v142
	v_fmac_f16_e32 v19, v8, v77
	v_mul_f16_e64 v8, v8, v142
	s_delay_alu instid0(VALU_DEP_1)
	v_fma_f16 v17, v17, v77, -v8
	ds_load_2addr_b32 v[8:9], v116 offset1:63
	v_add_f16_e32 v20, v17, v50
	s_wait_dscnt 0x0
	v_lshrrev_b32_e32 v23, 16, v9
	v_add_f16_e32 v52, v9, v17
	s_delay_alu instid0(VALU_DEP_3)
	v_fmac_f16_e32 v9, -0.5, v20
	v_add_f16_e32 v20, v19, v51
	v_sub_f16_e32 v17, v17, v50
	v_add_f16_e32 v53, v23, v19
	v_sub_f16_e32 v19, v19, v51
	v_lshrrev_b32_e32 v58, 16, v8
	v_fmac_f16_e32 v23, -0.5, v20
	v_add_f16_e32 v50, v52, v50
	v_add_f16_e32 v51, v53, v51
	v_fmamk_f16 v54, v19, 0x3aee, v9
	v_fmac_f16_e32 v9, 0xbaee, v19
	ds_load_2addr_b32 v[19:20], v94 offset0:120 offset1:183
	v_fmamk_f16 v55, v17, 0xbaee, v23
	v_fmac_f16_e32 v23, 0x3aee, v17
	v_pack_b32_f16 v14, v50, v51
	s_delay_alu instid0(VALU_DEP_3) | instskip(NEXT) | instid1(VALU_DEP_3)
	v_pack_b32_f16 v46, v54, v55
	v_pack_b32_f16 v57, v9, v23
	s_wait_dscnt 0x0
	v_lshrrev_b32_e32 v17, 16, v20
	v_mul_f16_e64 v9, v20, v145
	s_delay_alu instid0(VALU_DEP_2) | instskip(NEXT) | instid1(VALU_DEP_2)
	v_mul_f16_e64 v32, v17, v145
	v_fmac_f16_e32 v9, v17, v75
	s_delay_alu instid0(VALU_DEP_2) | instskip(NEXT) | instid1(VALU_DEP_2)
	v_fma_f16 v32, v20, v75, -v32
	v_add_f16_e32 v20, v9, v22
	v_sub_f16_e32 v59, v9, v22
	s_delay_alu instid0(VALU_DEP_3) | instskip(SKIP_1) | instid1(VALU_DEP_2)
	v_add_f16_e32 v33, v32, v21
	v_sub_f16_e32 v17, v32, v21
	v_fma_f16 v56, -0.5, v33, v8
	v_add_f16_e32 v8, v8, v32
	s_delay_alu instid0(VALU_DEP_2) | instskip(NEXT) | instid1(VALU_DEP_2)
	v_fmamk_f16 v4, v59, 0x3aee, v56
	v_add_f16_e32 v6, v8, v21
	v_add_f16_e32 v8, v58, v9
	v_fmac_f16_e32 v58, -0.5, v20
	v_and_b32_e32 v9, 0xffff, v7
	v_fmac_f16_e32 v56, 0xbaee, v59
	s_delay_alu instid0(VALU_DEP_4) | instskip(NEXT) | instid1(VALU_DEP_1)
	v_add_f16_e32 v8, v8, v22
	v_pack_b32_f16 v60, v6, v8
	v_fmamk_f16 v6, v17, 0xbaee, v58
	v_and_b32_e32 v8, 0xffff, v5
	v_fmac_f16_e32 v58, 0x3aee, v17
	s_delay_alu instid0(VALU_DEP_3) | instskip(SKIP_2) | instid1(VALU_DEP_4)
	v_pack_b32_f16 v61, v4, v6
	v_mul_u32_u24_e32 v4, 0xaaab, v10
	v_and_b32_e32 v6, 0xffff, v1
	v_pack_b32_f16 v17, v56, v58
	s_delay_alu instid0(VALU_DEP_3) | instskip(SKIP_1) | instid1(VALU_DEP_1)
	v_lshrrev_b32_e32 v62, 17, v4
	v_mul_u32_u24_e32 v4, 0xaaab, v9
	v_lshrrev_b32_e32 v63, 17, v4
	v_mul_u32_u24_e32 v4, 0xaaab, v8
	s_delay_alu instid0(VALU_DEP_1) | instskip(SKIP_1) | instid1(VALU_DEP_1)
	v_lshrrev_b32_e32 v64, 17, v4
	v_mul_u32_u24_e32 v4, 0xaaab, v6
	v_lshrrev_b32_e32 v65, 17, v4
	v_and_b32_e32 v4, 0xffff, v2
	s_delay_alu instid0(VALU_DEP_1) | instskip(NEXT) | instid1(VALU_DEP_1)
	v_mul_u32_u24_e32 v20, 0xaaab, v4
	v_lshrrev_b32_e32 v66, 17, v20
	v_mul_lo_u16 v20, v62, 3
	s_delay_alu instid0(VALU_DEP_1) | instskip(SKIP_1) | instid1(VALU_DEP_1)
	v_sub_nc_u16 v67, v11, v20
	v_mul_lo_u16 v20, v63, 3
	v_sub_nc_u16 v68, v7, v20
	v_mul_lo_u16 v20, v64, 3
	s_delay_alu instid0(VALU_DEP_2) | instskip(NEXT) | instid1(VALU_DEP_2)
	v_lshlrev_b16 v21, 1, v68
	v_sub_nc_u16 v69, v5, v20
	v_mul_lo_u16 v20, v65, 3
	s_delay_alu instid0(VALU_DEP_3) | instskip(NEXT) | instid1(VALU_DEP_3)
	v_and_b32_e32 v21, 0xffff, v21
	v_lshlrev_b16 v22, 1, v69
	s_delay_alu instid0(VALU_DEP_3) | instskip(SKIP_1) | instid1(VALU_DEP_4)
	v_sub_nc_u16 v70, v1, v20
	v_mul_lo_u16 v20, v66, 3
	v_lshlrev_b32_e32 v21, 2, v21
	s_delay_alu instid0(VALU_DEP_4) | instskip(NEXT) | instid1(VALU_DEP_4)
	v_and_b32_e32 v22, 0xffff, v22
	v_lshlrev_b16 v23, 1, v70
	s_delay_alu instid0(VALU_DEP_4) | instskip(SKIP_1) | instid1(VALU_DEP_4)
	v_sub_nc_u16 v71, v2, v20
	v_lshlrev_b16 v20, 1, v67
	v_lshlrev_b32_e32 v22, 2, v22
	s_delay_alu instid0(VALU_DEP_4) | instskip(NEXT) | instid1(VALU_DEP_4)
	v_and_b32_e32 v23, 0xffff, v23
	v_lshlrev_b16 v32, 1, v71
	s_delay_alu instid0(VALU_DEP_4) | instskip(NEXT) | instid1(VALU_DEP_3)
	v_and_b32_e32 v20, 0xffff, v20
	v_lshlrev_b32_e32 v23, 2, v23
	s_delay_alu instid0(VALU_DEP_3) | instskip(NEXT) | instid1(VALU_DEP_3)
	v_and_b32_e32 v32, 0xffff, v32
	v_lshlrev_b32_e32 v20, 2, v20
	s_clause 0x1
	global_load_b64 v[83:84], v20, s[10:11]
	global_load_b64 v[85:86], v21, s[10:11]
	v_lshlrev_b32_e32 v32, 2, v32
	ds_load_b32 v72, v116 offset:6552
	s_clause 0x2
	global_load_b64 v[87:88], v22, s[10:11]
	global_load_b64 v[89:90], v23, s[10:11]
	;; [unrolled: 1-line block ×3, first 2 shown]
	ds_load_2addr_b32 v[20:21], v116 offset0:126 offset1:189
	ds_load_2addr_b32 v[22:23], v104 offset0:108 offset1:171
	;; [unrolled: 1-line block ×9, first 2 shown]
	global_wb scope:SCOPE_SE
	s_wait_loadcnt_dscnt 0x0
	s_barrier_signal -1
	s_barrier_wait -1
	global_inv scope:SCOPE_SE
	ds_store_2addr_b32 v242, v60, v61 offset1:3
	ds_store_b32 v242, v17 offset:24
	ds_store_2addr_b32 v247, v14, v46 offset1:3
	v_lshrrev_b32_e32 v14, 16, v18
	s_delay_alu instid0(VALU_DEP_1)
	v_mul_f16_e64 v17, v14, v154
	v_lshrrev_b32_e32 v51, 16, v23
	v_mul_f16_e64 v53, v32, v165
	v_lshrrev_b32_e32 v46, 16, v22
	v_lshrrev_b32_e32 v54, 16, v21
	v_fma_f16 v17, v18, v79, -v17
	v_mul_f16_e64 v52, v51, v162
	v_mul_f16_e64 v18, v18, v154
	;; [unrolled: 1-line block ×3, first 2 shown]
	s_delay_alu instid0(VALU_DEP_3) | instskip(SKIP_1) | instid1(VALU_DEP_3)
	v_fma_f16 v52, v23, v82, -v52
	v_mul_f16_e64 v23, v23, v162
	v_fma_f16 v50, v22, v80, -v50
	v_mul_f16_e64 v22, v22, v157
	v_fmac_f16_e32 v18, v14, v79
	s_delay_alu instid0(VALU_DEP_4) | instskip(SKIP_1) | instid1(VALU_DEP_4)
	v_fmac_f16_e32 v23, v51, v82
	v_lshrrev_b32_e32 v51, 16, v32
	v_fmac_f16_e32 v22, v46, v80
	v_sub_f16_e32 v14, v17, v50
	s_delay_alu instid0(VALU_DEP_3) | instskip(SKIP_1) | instid1(VALU_DEP_4)
	v_fmac_f16_e32 v53, v51, v81
	v_mul_f16_e64 v51, v51, v165
	v_add_f16_e32 v46, v18, v22
	s_delay_alu instid0(VALU_DEP_3) | instskip(NEXT) | instid1(VALU_DEP_3)
	v_add_f16_e32 v56, v54, v53
	v_fma_f16 v32, v32, v81, -v51
	s_delay_alu instid0(VALU_DEP_1) | instskip(SKIP_2) | instid1(VALU_DEP_3)
	v_add_f16_e32 v51, v32, v52
	v_add_f16_e32 v55, v21, v32
	v_sub_f16_e32 v32, v32, v52
	v_fmac_f16_e32 v21, -0.5, v51
	v_add_f16_e32 v51, v53, v23
	s_delay_alu instid0(VALU_DEP_1) | instskip(SKIP_1) | instid1(VALU_DEP_1)
	v_fmac_f16_e32 v54, -0.5, v51
	v_sub_f16_e32 v51, v53, v23
	v_fmamk_f16 v53, v51, 0x3aee, v21
	v_fmac_f16_e32 v21, 0xbaee, v51
	s_delay_alu instid0(VALU_DEP_4) | instskip(SKIP_2) | instid1(VALU_DEP_2)
	v_fmamk_f16 v51, v32, 0xbaee, v54
	v_fmac_f16_e32 v54, 0x3aee, v32
	v_add_f16_e32 v32, v17, v50
	v_pack_b32_f16 v21, v21, v54
	s_delay_alu instid0(VALU_DEP_2) | instskip(SKIP_2) | instid1(VALU_DEP_1)
	v_fma_f16 v32, -0.5, v32, v20
	v_lshrrev_b32_e32 v54, 16, v20
	v_add_f16_e32 v20, v20, v17
	v_add_f16_e32 v17, v20, v50
	s_delay_alu instid0(VALU_DEP_3) | instskip(SKIP_2) | instid1(VALU_DEP_3)
	v_add_f16_e32 v20, v54, v18
	v_sub_f16_e32 v18, v18, v22
	v_fmac_f16_e32 v54, -0.5, v46
	v_add_f16_e32 v20, v20, v22
	v_and_b32_e32 v22, 0xffff, v24
	s_delay_alu instid0(VALU_DEP_2) | instskip(NEXT) | instid1(VALU_DEP_2)
	v_pack_b32_f16 v17, v17, v20
	v_mul_u32_u24_e32 v22, 9, v22
	v_fmamk_f16 v20, v18, 0x3aee, v32
	v_fmac_f16_e32 v32, 0xbaee, v18
	v_pack_b32_f16 v18, v53, v51
	s_delay_alu instid0(VALU_DEP_4) | instskip(SKIP_3) | instid1(VALU_DEP_3)
	v_add_lshl_u32 v252, v22, v48, 2
	v_fmamk_f16 v22, v14, 0xbaee, v54
	v_fmac_f16_e32 v54, 0x3aee, v14
	v_and_b32_e32 v14, 0xffff, v47
	v_pack_b32_f16 v20, v20, v22
	ds_store_b32 v247, v57 offset:24
	ds_store_2addr_b32 v252, v17, v20 offset1:3
	v_add_f16_e32 v17, v55, v52
	v_add_f16_e32 v20, v56, v23
	v_mul_u32_u24_e32 v14, 9, v14
	v_lshrrev_b32_e32 v23, 16, v37
	s_delay_alu instid0(VALU_DEP_2) | instskip(NEXT) | instid1(VALU_DEP_4)
	v_add_lshl_u32 v254, v14, v49, 2
	v_pack_b32_f16 v14, v17, v20
	v_pack_b32_f16 v17, v32, v54
	ds_store_b32 v252, v17 offset:24
	ds_store_2addr_b32 v254, v14, v18 offset1:3
	v_lshrrev_b32_e32 v14, 16, v33
	v_lshrrev_b32_e32 v20, 16, v36
	ds_store_b32 v254, v21 offset:24
	v_lshrrev_b32_e32 v166, 16, v83
	v_lshrrev_b32_e32 v118, 16, v84
	;; [unrolled: 1-line block ×5, first 2 shown]
	v_mul_f16_e64 v18, v33, v166
	v_mul_f16_e32 v32, v36, v118
	v_mul_f16_e64 v17, v14, v166
	v_mul_f16_e32 v22, v20, v118
	v_mul_f16_e32 v24, v23, v122
	v_fmac_f16_e32 v18, v14, v83
	v_fmac_f16_e32 v32, v20, v84
	v_lshrrev_b32_e32 v14, 16, v38
	v_mul_f16_e32 v20, v38, v125
	v_fma_f16 v17, v33, v83, -v17
	v_fma_f16 v24, v37, v86, -v24
	v_mul_f16_e32 v33, v37, v122
	v_fma_f16 v22, v36, v84, -v22
	v_fmac_f16_e32 v20, v14, v85
	v_mul_f16_e32 v14, v14, v125
	v_lshrrev_b32_e32 v36, 16, v35
	v_fmac_f16_e32 v33, v23, v86
	v_add_f16_e32 v47, v18, v32
	v_lshrrev_b32_e32 v174, 16, v88
	v_fma_f16 v14, v38, v85, -v14
	v_add_f16_e32 v38, v36, v20
	v_lshrrev_b32_e32 v128, 16, v90
	v_lshrrev_b32_e32 v129, 16, v89
	;; [unrolled: 1-line block ×3, first 2 shown]
	v_add_f16_e32 v23, v14, v24
	v_add_f16_e32 v37, v35, v14
	v_sub_f16_e32 v14, v14, v24
	v_lshrrev_b32_e32 v175, 16, v92
	s_delay_alu instid0(VALU_DEP_4) | instskip(SKIP_2) | instid1(VALU_DEP_2)
	v_fmac_f16_e32 v35, -0.5, v23
	v_add_f16_e32 v23, v20, v33
	v_sub_f16_e32 v20, v20, v33
	v_fmac_f16_e32 v36, -0.5, v23
	s_delay_alu instid0(VALU_DEP_2) | instskip(SKIP_1) | instid1(VALU_DEP_3)
	v_fmamk_f16 v23, v20, 0x3aee, v35
	v_fmac_f16_e32 v35, 0xbaee, v20
	v_fmamk_f16 v20, v14, 0xbaee, v36
	v_fmac_f16_e32 v36, 0x3aee, v14
	v_add_f16_e32 v14, v17, v22
	s_delay_alu instid0(VALU_DEP_2) | instskip(SKIP_1) | instid1(VALU_DEP_3)
	v_pack_b32_f16 v35, v35, v36
	v_lshrrev_b32_e32 v36, 16, v34
	v_fma_f16 v14, -0.5, v14, v34
	v_add_f16_e32 v34, v34, v17
	v_sub_f16_e32 v17, v17, v22
	s_delay_alu instid0(VALU_DEP_4) | instskip(SKIP_1) | instid1(VALU_DEP_4)
	v_add_f16_e32 v46, v36, v18
	v_sub_f16_e32 v18, v18, v32
	v_add_f16_e32 v34, v34, v22
	v_fmac_f16_e32 v36, -0.5, v47
	v_mad_u16 v22, v62, 9, v67
	v_add_f16_e32 v32, v46, v32
	s_delay_alu instid0(VALU_DEP_3) | instskip(NEXT) | instid1(VALU_DEP_3)
	v_fmamk_f16 v46, v17, 0xbaee, v36
	v_and_b32_e32 v21, 0xffff, v22
	s_delay_alu instid0(VALU_DEP_3)
	v_pack_b32_f16 v32, v34, v32
	v_fmamk_f16 v34, v18, 0x3aee, v14
	v_fmac_f16_e32 v14, 0xbaee, v18
	v_fmac_f16_e32 v36, 0x3aee, v17
	v_lshlrev_b32_e32 v255, 2, v21
	v_mad_u16 v21, v63, 9, v68
	v_add_f16_e32 v17, v37, v24
	v_add_f16_e32 v18, v38, v33
	v_pack_b32_f16 v14, v14, v36
	v_pack_b32_f16 v34, v34, v46
	v_lshrrev_b32_e32 v22, 16, v40
	s_delay_alu instid0(VALU_DEP_4)
	v_pack_b32_f16 v17, v17, v18
	ds_store_b32 v255, v14 offset:24
	v_and_b32_e32 v14, 0xffff, v21
	v_pack_b32_f16 v18, v23, v20
	ds_store_2addr_b32 v255, v32, v34 offset1:3
	v_mul_f16_e64 v21, v42, v174
	v_mad_u16 v20, v64, 9, v69
	v_lshlrev_b32_e32 v119, 2, v14
	v_lshrrev_b32_e32 v14, 16, v39
	s_delay_alu instid0(VALU_DEP_3)
	v_and_b32_e32 v20, 0xffff, v20
	ds_store_2addr_b32 v119, v17, v18 offset1:3
	v_mul_f16_e32 v18, v39, v126
	v_mul_f16_e32 v17, v14, v126
	ds_store_b32 v119, v35 offset:24
	v_lshlrev_b32_e32 v253, 2, v20
	v_fmac_f16_e32 v18, v14, v87
	v_lshrrev_b32_e32 v14, 16, v42
	v_fma_f16 v17, v39, v87, -v17
	s_delay_alu instid0(VALU_DEP_3) | instskip(NEXT) | instid1(VALU_DEP_3)
	v_add_f16_e32 v23, v22, v18
	v_fmac_f16_e32 v21, v14, v88
	v_mul_f16_e64 v14, v14, v174
	s_delay_alu instid0(VALU_DEP_2) | instskip(NEXT) | instid1(VALU_DEP_2)
	v_sub_f16_e32 v24, v18, v21
	v_fma_f16 v14, v42, v88, -v14
	v_add_f16_e32 v18, v18, v21
	v_add_f16_e32 v21, v23, v21
	;; [unrolled: 1-line block ×3, first 2 shown]
	s_delay_alu instid0(VALU_DEP_4) | instskip(NEXT) | instid1(VALU_DEP_4)
	v_add_f16_e32 v32, v17, v14
	v_fmac_f16_e32 v22, -0.5, v18
	s_delay_alu instid0(VALU_DEP_3) | instskip(SKIP_1) | instid1(VALU_DEP_4)
	v_add_f16_e32 v23, v23, v14
	v_sub_f16_e32 v14, v17, v14
	v_fma_f16 v18, -0.5, v32, v40
	s_delay_alu instid0(VALU_DEP_3) | instskip(NEXT) | instid1(VALU_DEP_3)
	v_pack_b32_f16 v17, v23, v21
	v_fmamk_f16 v23, v14, 0xbaee, v22
	s_delay_alu instid0(VALU_DEP_3) | instskip(SKIP_3) | instid1(VALU_DEP_4)
	v_fmamk_f16 v21, v24, 0x3aee, v18
	v_fmac_f16_e32 v18, 0xbaee, v24
	v_fmac_f16_e32 v22, 0x3aee, v14
	v_mad_u16 v14, v65, 9, v70
	v_pack_b32_f16 v21, v21, v23
	v_mul_f16_e64 v23, v44, v129
	s_delay_alu instid0(VALU_DEP_4) | instskip(NEXT) | instid1(VALU_DEP_4)
	v_pack_b32_f16 v18, v18, v22
	v_and_b32_e32 v14, 0xffff, v14
	ds_store_2addr_b32 v253, v17, v21 offset1:3
	v_lshrrev_b32_e32 v17, 16, v43
	v_mul_f16_e64 v21, v43, v128
	v_lshlrev_b32_e32 v121, 2, v14
	ds_store_b32 v253, v18 offset:24
	v_mul_f16_e64 v20, v17, v128
	v_fmac_f16_e32 v21, v17, v90
	v_lshrrev_b32_e32 v17, 16, v44
	s_delay_alu instid0(VALU_DEP_3) | instskip(NEXT) | instid1(VALU_DEP_2)
	v_fma_f16 v20, v43, v90, -v20
	v_fmac_f16_e32 v23, v17, v89
	v_mul_f16_e64 v17, v17, v129
	s_delay_alu instid0(VALU_DEP_2) | instskip(NEXT) | instid1(VALU_DEP_2)
	v_sub_f16_e32 v35, v23, v21
	v_fma_f16 v17, v44, v89, -v17
	s_delay_alu instid0(VALU_DEP_1) | instskip(SKIP_2) | instid1(VALU_DEP_3)
	v_add_f16_e32 v32, v41, v17
	v_add_f16_e32 v33, v17, v20
	v_sub_f16_e32 v17, v17, v20
	v_add_f16_e32 v20, v32, v20
	v_lshrrev_b32_e32 v32, 16, v41
	s_delay_alu instid0(VALU_DEP_4) | instskip(NEXT) | instid1(VALU_DEP_2)
	v_fmac_f16_e32 v41, -0.5, v33
	v_add_f16_e32 v34, v32, v23
	v_add_f16_e32 v23, v23, v21
	s_delay_alu instid0(VALU_DEP_2) | instskip(NEXT) | instid1(VALU_DEP_2)
	v_add_f16_e32 v21, v34, v21
	v_fmac_f16_e32 v32, -0.5, v23
	v_lshrrev_b32_e32 v23, 16, v19
	s_delay_alu instid0(VALU_DEP_3) | instskip(SKIP_1) | instid1(VALU_DEP_4)
	v_pack_b32_f16 v20, v20, v21
	v_fmamk_f16 v21, v35, 0x3aee, v41
	v_fmamk_f16 v22, v17, 0xbaee, v32
	v_fmac_f16_e32 v32, 0x3aee, v17
	v_lshrrev_b32_e32 v17, 16, v45
	v_fmac_f16_e32 v41, 0xbaee, v35
	s_delay_alu instid0(VALU_DEP_4) | instskip(SKIP_1) | instid1(VALU_DEP_4)
	v_pack_b32_f16 v21, v21, v22
	v_mul_f16_e64 v22, v72, v175
	v_mul_f16_e64 v18, v17, v176
	s_delay_alu instid0(VALU_DEP_4)
	v_pack_b32_f16 v14, v41, v32
	ds_store_2addr_b32 v121, v20, v21 offset1:3
	v_mul_f16_e64 v20, v45, v176
	v_fma_f16 v18, v45, v91, -v18
	ds_store_b32 v121, v14 offset:24
	v_fmac_f16_e32 v20, v17, v91
	v_lshrrev_b32_e32 v17, 16, v72
	v_add_f16_e32 v24, v19, v18
	s_delay_alu instid0(VALU_DEP_2) | instskip(SKIP_1) | instid1(VALU_DEP_2)
	v_mul_f16_e64 v21, v17, v175
	v_fmac_f16_e32 v22, v17, v92
	v_fma_f16 v21, v72, v92, -v21
	s_delay_alu instid0(VALU_DEP_1) | instskip(NEXT) | instid1(VALU_DEP_1)
	v_add_f16_e32 v17, v18, v21
	v_fmac_f16_e32 v19, -0.5, v17
	s_delay_alu instid0(VALU_DEP_4) | instskip(NEXT) | instid1(VALU_DEP_1)
	v_sub_f16_e32 v17, v20, v22
	v_fmamk_f16 v32, v17, 0x3aee, v19
	v_fmac_f16_e32 v19, 0xbaee, v17
	v_add_f16_e32 v17, v20, v22
	v_add_f16_e32 v20, v23, v20
	s_delay_alu instid0(VALU_DEP_2) | instskip(SKIP_1) | instid1(VALU_DEP_3)
	v_fmac_f16_e32 v23, -0.5, v17
	v_sub_f16_e32 v17, v18, v21
	v_add_f16_e32 v20, v20, v22
	s_delay_alu instid0(VALU_DEP_2) | instskip(SKIP_1) | instid1(VALU_DEP_2)
	v_fmamk_f16 v18, v17, 0xbaee, v23
	v_fmac_f16_e32 v23, 0x3aee, v17
	v_pack_b32_f16 v18, v32, v18
	s_delay_alu instid0(VALU_DEP_2) | instskip(SKIP_2) | instid1(VALU_DEP_2)
	v_pack_b32_f16 v17, v19, v23
	v_add_f16_e32 v19, v24, v21
	v_mad_u16 v21, v66, 9, v71
	v_pack_b32_f16 v14, v19, v20
	s_delay_alu instid0(VALU_DEP_2) | instskip(NEXT) | instid1(VALU_DEP_1)
	v_and_b32_e32 v19, 0xffff, v21
	v_lshlrev_b32_e32 v127, 2, v19
	ds_store_2addr_b32 v127, v14, v18 offset1:3
	ds_store_b32 v127, v17 offset:24
	v_mul_lo_u16 v14, v12, 57
	v_mul_lo_u16 v17, v13, 57
	global_wb scope:SCOPE_SE
	s_wait_dscnt 0x0
	s_barrier_signal -1
	s_barrier_wait -1
	v_lshrrev_b16 v14, 9, v14
	v_lshrrev_b16 v24, 9, v17
	global_inv scope:SCOPE_SE
	v_mul_lo_u16 v12, v12, 19
	v_mul_lo_u16 v13, v13, 19
	;; [unrolled: 1-line block ×5, first 2 shown]
	v_lshrrev_b16 v12, 9, v12
	s_delay_alu instid0(VALU_DEP_4) | instskip(NEXT) | instid1(VALU_DEP_4)
	v_sub_nc_u16 v17, v15, v17
	v_sub_nc_u16 v18, v29, v18
	s_delay_alu instid0(VALU_DEP_4) | instskip(NEXT) | instid1(VALU_DEP_3)
	v_and_b32_e32 v14, 0xff, v14
	v_and_b32_e32 v23, 0xff, v17
	v_mul_lo_u16 v17, v3, 57
	s_delay_alu instid0(VALU_DEP_4) | instskip(NEXT) | instid1(VALU_DEP_3)
	v_and_b32_e32 v48, 0xff, v18
	v_add_lshl_u32 v115, v14, v23, 2
	s_delay_alu instid0(VALU_DEP_3) | instskip(SKIP_1) | instid1(VALU_DEP_1)
	v_lshrrev_b16 v46, 9, v17
	v_mul_lo_u16 v17, v0, 57
	v_lshrrev_b16 v47, 9, v17
	s_delay_alu instid0(VALU_DEP_3) | instskip(NEXT) | instid1(VALU_DEP_2)
	v_mul_lo_u16 v17, v46, 9
	v_mul_lo_u16 v19, v47, 9
	s_delay_alu instid0(VALU_DEP_2) | instskip(NEXT) | instid1(VALU_DEP_2)
	v_sub_nc_u16 v17, v30, v17
	v_sub_nc_u16 v19, v177, v19
	s_delay_alu instid0(VALU_DEP_2) | instskip(SKIP_1) | instid1(VALU_DEP_3)
	v_and_b32_e32 v49, 0xff, v17
	v_lshlrev_b32_e32 v17, 3, v23
	v_and_b32_e32 v50, 0xff, v19
	global_load_b64 v[57:58], v17, s[10:11] offset:24
	v_lshlrev_b32_e32 v17, 3, v48
	v_lshlrev_b32_e32 v18, 3, v50
	global_load_b64 v[59:60], v17, s[10:11] offset:24
	v_lshlrev_b32_e32 v17, 3, v49
	s_clause 0x1
	global_load_b64 v[61:62], v17, s[10:11] offset:24
	global_load_b64 v[63:64], v18, s[10:11] offset:24
	ds_load_2addr_b32 v[17:18], v26 offset0:110 offset1:173
	s_wait_dscnt 0x0
	v_lshrrev_b32_e32 v32, 16, v17
	s_wait_loadcnt 0x3
	v_lshrrev_b32_e32 v224, 16, v58
	v_lshrrev_b32_e32 v231, 16, v57
	s_delay_alu instid0(VALU_DEP_2)
	v_mul_f16_e64 v19, v32, v224
	s_wait_loadcnt 0x2
	v_lshrrev_b32_e32 v226, 16, v60
	v_mul_f16_e64 v34, v17, v224
	v_lshrrev_b32_e32 v229, 16, v59
	v_fma_f16 v33, v17, v58, -v19
	v_lshrrev_b32_e32 v19, 16, v18
	v_mul_f16_e64 v52, v18, v226
	v_fmac_f16_e32 v34, v32, v58
	s_wait_loadcnt 0x0
	v_lshrrev_b32_e32 v249, 16, v64
	v_lshrrev_b32_e32 v251, 16, v63
	v_mul_f16_e64 v20, v19, v226
	v_fmac_f16_e32 v52, v19, v60
	v_lshrrev_b32_e32 v245, 16, v61
	v_lshrrev_b32_e32 v246, 16, v62
	s_delay_alu instid0(VALU_DEP_4) | instskip(SKIP_4) | instid1(VALU_DEP_1)
	v_fma_f16 v51, v18, v60, -v20
	ds_load_2addr_b32 v[17:18], v25 offset0:118 offset1:181
	s_wait_dscnt 0x0
	v_lshrrev_b32_e32 v19, 16, v17
	v_mul_f16_e64 v21, v17, v229
	v_fmac_f16_e32 v21, v19, v59
	v_mul_f16_e64 v19, v19, v229
	s_delay_alu instid0(VALU_DEP_1)
	v_fma_f16 v17, v17, v59, -v19
	ds_load_2addr_b32 v[19:20], v116 offset1:63
	v_add_f16_e32 v22, v17, v51
	s_wait_dscnt 0x0
	v_lshrrev_b32_e32 v35, 16, v20
	v_add_f16_e32 v53, v20, v17
	s_delay_alu instid0(VALU_DEP_3)
	v_fmac_f16_e32 v20, -0.5, v22
	v_add_f16_e32 v22, v21, v52
	v_sub_f16_e32 v17, v17, v51
	v_add_f16_e32 v54, v35, v21
	v_sub_f16_e32 v21, v21, v52
	v_lshrrev_b32_e32 v100, 16, v19
	v_fmac_f16_e32 v35, -0.5, v22
	s_delay_alu instid0(VALU_DEP_3) | instskip(SKIP_4) | instid1(VALU_DEP_1)
	v_fmamk_f16 v55, v21, 0x3aee, v20
	v_fmac_f16_e32 v20, 0xbaee, v21
	ds_load_2addr_b32 v[21:22], v94 offset0:120 offset1:183
	v_fmamk_f16 v56, v17, 0xbaee, v35
	v_fmac_f16_e32 v35, 0x3aee, v17
	v_pack_b32_f16 v99, v20, v35
	s_wait_dscnt 0x0
	v_lshrrev_b32_e32 v17, 16, v22
	v_mul_f16_e64 v20, v22, v231
	s_delay_alu instid0(VALU_DEP_2) | instskip(NEXT) | instid1(VALU_DEP_2)
	v_mul_f16_e64 v36, v17, v231
	v_fmac_f16_e32 v20, v17, v57
	s_delay_alu instid0(VALU_DEP_2) | instskip(NEXT) | instid1(VALU_DEP_2)
	v_fma_f16 v36, v22, v57, -v36
	v_add_f16_e32 v22, v100, v20
	v_add_f16_e32 v32, v20, v34
	v_sub_f16_e32 v101, v20, v34
	s_delay_alu instid0(VALU_DEP_4)
	v_add_f16_e32 v37, v36, v33
	v_sub_f16_e32 v17, v36, v33
	v_add_f16_e32 v20, v22, v34
	v_fmac_f16_e32 v100, -0.5, v32
	v_mul_u32_u24_e32 v22, 0xe38f, v9
	v_fma_f16 v98, -0.5, v37, v19
	v_add_f16_e32 v19, v19, v36
	s_delay_alu instid0(VALU_DEP_3) | instskip(NEXT) | instid1(VALU_DEP_2)
	v_lshrrev_b32_e32 v106, 19, v22
	v_add_f16_e32 v19, v19, v33
	s_delay_alu instid0(VALU_DEP_1)
	v_pack_b32_f16 v14, v19, v20
	v_fmamk_f16 v19, v101, 0x3aee, v98
	v_fmamk_f16 v20, v17, 0xbaee, v100
	v_fmac_f16_e32 v100, 0x3aee, v17
	v_and_b32_e32 v17, 0xffff, v24
	v_fmac_f16_e32 v98, 0xbaee, v101
	v_pack_b32_f16 v24, v55, v56
	v_pack_b32_f16 v102, v19, v20
	v_mul_u32_u24_e32 v19, 0xe38f, v10
	v_mul_u32_u24_e32 v17, 27, v17
	s_delay_alu instid0(VALU_DEP_2) | instskip(NEXT) | instid1(VALU_DEP_2)
	v_lshrrev_b32_e32 v103, 19, v19
	v_add_lshl_u32 v101, v17, v48, 2
	v_pack_b32_f16 v17, v98, v100
	s_delay_alu instid0(VALU_DEP_3) | instskip(NEXT) | instid1(VALU_DEP_1)
	v_mul_lo_u16 v19, v103, 9
	v_sub_nc_u16 v105, v11, v19
	s_delay_alu instid0(VALU_DEP_1) | instskip(NEXT) | instid1(VALU_DEP_1)
	v_lshlrev_b16 v19, 3, v105
	v_and_b32_e32 v19, 0xffff, v19
	s_delay_alu instid0(VALU_DEP_1) | instskip(SKIP_4) | instid1(VALU_DEP_1)
	v_add_co_u32 v19, s2, s10, v19
	s_wait_alu 0xf1ff
	v_add_co_ci_u32_e64 v20, null, s11, 0, s2
	global_load_b64 v[65:66], v[19:20], off offset:24
	v_mul_lo_u16 v19, v106, 9
	v_sub_nc_u16 v107, v7, v19
	s_delay_alu instid0(VALU_DEP_1) | instskip(NEXT) | instid1(VALU_DEP_1)
	v_lshlrev_b16 v19, 3, v107
	v_and_b32_e32 v19, 0xffff, v19
	s_delay_alu instid0(VALU_DEP_1) | instskip(SKIP_4) | instid1(VALU_DEP_1)
	v_add_co_u32 v19, s2, s10, v19
	s_wait_alu 0xf1ff
	v_add_co_ci_u32_e64 v20, null, s11, 0, s2
	global_load_b64 v[67:68], v[19:20], off offset:24
	v_mul_u32_u24_e32 v19, 0xe38f, v8
	v_lshrrev_b32_e32 v108, 19, v19
	v_mul_u32_u24_e32 v19, 0xe38f, v6
	s_delay_alu instid0(VALU_DEP_1) | instskip(SKIP_1) | instid1(VALU_DEP_1)
	v_lshrrev_b32_e32 v109, 19, v19
	v_mul_u32_u24_e32 v19, 0xe38f, v4
	v_lshrrev_b32_e32 v110, 19, v19
	v_mul_lo_u16 v19, v108, 9
	s_delay_alu instid0(VALU_DEP_1) | instskip(SKIP_1) | instid1(VALU_DEP_1)
	v_sub_nc_u16 v111, v5, v19
	v_mul_lo_u16 v19, v109, 9
	v_sub_nc_u16 v112, v1, v19
	v_mul_lo_u16 v19, v110, 9
	s_delay_alu instid0(VALU_DEP_2) | instskip(NEXT) | instid1(VALU_DEP_2)
	v_lshlrev_b16 v20, 3, v112
	v_sub_nc_u16 v113, v2, v19
	v_lshlrev_b16 v19, 3, v111
	s_delay_alu instid0(VALU_DEP_3) | instskip(NEXT) | instid1(VALU_DEP_3)
	v_and_b32_e32 v22, 0xffff, v20
	v_lshlrev_b16 v20, 3, v113
	s_delay_alu instid0(VALU_DEP_3) | instskip(NEXT) | instid1(VALU_DEP_2)
	v_and_b32_e32 v19, 0xffff, v19
	v_and_b32_e32 v32, 0xffff, v20
	s_delay_alu instid0(VALU_DEP_2)
	v_add_co_u32 v19, s2, s10, v19
	s_wait_alu 0xf1ff
	v_add_co_ci_u32_e64 v20, null, s11, 0, s2
	v_add_co_u32 v22, s2, s10, v22
	s_wait_alu 0xf1ff
	v_add_co_ci_u32_e64 v23, null, s11, 0, s2
	;; [unrolled: 3-line block ×3, first 2 shown]
	s_clause 0x2
	global_load_b64 v[69:70], v[19:20], off offset:24
	global_load_b64 v[71:72], v[22:23], off offset:24
	;; [unrolled: 1-line block ×3, first 2 shown]
	ds_load_b32 v114, v116 offset:6552
	ds_load_2addr_b32 v[19:20], v116 offset0:126 offset1:189
	ds_load_2addr_b32 v[22:23], v104 offset0:108 offset1:171
	;; [unrolled: 1-line block ×9, first 2 shown]
	global_wb scope:SCOPE_SE
	s_wait_loadcnt_dscnt 0x0
	s_barrier_signal -1
	s_barrier_wait -1
	global_inv scope:SCOPE_SE
	ds_store_2addr_b32 v115, v14, v102 offset1:9
	v_add_f16_e32 v14, v53, v51
	v_add_f16_e32 v51, v54, v52
	scratch_store_b32 off, v115, off offset:208 ; 4-byte Folded Spill
	v_lshrrev_b16 v102, 9, v13
	v_pack_b32_f16 v14, v14, v51
	v_lshrrev_b32_e32 v51, 16, v23
	v_mul_f16_e64 v53, v32, v251
	ds_store_b32 v115, v17 offset:72
	ds_store_2addr_b32 v101, v14, v24 offset1:9
	v_lshrrev_b32_e32 v14, 16, v18
	v_mul_f16_e64 v52, v51, v249
	v_lshrrev_b32_e32 v24, 16, v22
	v_lshrrev_b32_e32 v54, 16, v20
	scratch_store_b32 off, v101, off offset:212 ; 4-byte Folded Spill
	v_mul_f16_e64 v17, v14, v245
	v_fma_f16 v52, v23, v64, -v52
	v_mul_f16_e64 v23, v23, v249
	v_mul_f16_e64 v48, v24, v246
	s_delay_alu instid0(VALU_DEP_4) | instskip(SKIP_1) | instid1(VALU_DEP_4)
	v_fma_f16 v17, v18, v61, -v17
	v_mul_f16_e64 v18, v18, v245
	v_fmac_f16_e32 v23, v51, v64
	v_lshrrev_b32_e32 v51, 16, v32
	v_fma_f16 v48, v22, v62, -v48
	v_mul_f16_e64 v22, v22, v246
	v_fmac_f16_e32 v18, v14, v61
	s_delay_alu instid0(VALU_DEP_4) | instskip(SKIP_1) | instid1(VALU_DEP_4)
	v_fmac_f16_e32 v53, v51, v63
	v_mul_f16_e64 v51, v51, v251
	v_fmac_f16_e32 v22, v24, v62
	v_sub_f16_e32 v14, v17, v48
	s_delay_alu instid0(VALU_DEP_4) | instskip(NEXT) | instid1(VALU_DEP_4)
	v_add_f16_e32 v56, v54, v53
	v_fma_f16 v32, v32, v63, -v51
	s_delay_alu instid0(VALU_DEP_4) | instskip(NEXT) | instid1(VALU_DEP_2)
	v_add_f16_e32 v24, v18, v22
	v_add_f16_e32 v51, v32, v52
	;; [unrolled: 1-line block ×3, first 2 shown]
	v_sub_f16_e32 v32, v32, v52
	s_delay_alu instid0(VALU_DEP_3) | instskip(SKIP_1) | instid1(VALU_DEP_1)
	v_fmac_f16_e32 v20, -0.5, v51
	v_add_f16_e32 v51, v53, v23
	v_fmac_f16_e32 v54, -0.5, v51
	v_sub_f16_e32 v51, v53, v23
	s_delay_alu instid0(VALU_DEP_1) | instskip(SKIP_1) | instid1(VALU_DEP_4)
	v_fmamk_f16 v53, v51, 0x3aee, v20
	v_fmac_f16_e32 v20, 0xbaee, v51
	v_fmamk_f16 v51, v32, 0xbaee, v54
	v_fmac_f16_e32 v54, 0x3aee, v32
	v_add_f16_e32 v32, v17, v48
	s_delay_alu instid0(VALU_DEP_2) | instskip(NEXT) | instid1(VALU_DEP_2)
	v_pack_b32_f16 v20, v20, v54
	v_fma_f16 v32, -0.5, v32, v19
	v_lshrrev_b32_e32 v54, 16, v19
	v_add_f16_e32 v19, v19, v17
	s_delay_alu instid0(VALU_DEP_1) | instskip(NEXT) | instid1(VALU_DEP_3)
	v_add_f16_e32 v17, v19, v48
	v_add_f16_e32 v19, v54, v18
	v_sub_f16_e32 v18, v18, v22
	v_fmac_f16_e32 v54, -0.5, v24
	s_delay_alu instid0(VALU_DEP_3) | instskip(SKIP_1) | instid1(VALU_DEP_2)
	v_add_f16_e32 v19, v19, v22
	v_and_b32_e32 v22, 0xffff, v46
	v_pack_b32_f16 v17, v17, v19
	s_delay_alu instid0(VALU_DEP_2) | instskip(SKIP_3) | instid1(VALU_DEP_4)
	v_mul_u32_u24_e32 v22, 27, v22
	v_fmamk_f16 v19, v18, 0x3aee, v32
	v_fmac_f16_e32 v32, 0xbaee, v18
	v_pack_b32_f16 v18, v53, v51
	v_add_lshl_u32 v24, v22, v49, 2
	v_fmamk_f16 v22, v14, 0xbaee, v54
	v_fmac_f16_e32 v54, 0x3aee, v14
	v_and_b32_e32 v14, 0xffff, v47
	s_delay_alu instid0(VALU_DEP_3)
	v_pack_b32_f16 v19, v19, v22
	ds_store_b32 v101, v99 offset:72
	ds_store_2addr_b32 v24, v17, v19 offset1:9
	v_add_f16_e32 v17, v55, v52
	v_add_f16_e32 v19, v56, v23
	v_mul_u32_u24_e32 v14, 27, v14
	scratch_store_b32 off, v24, off offset:216 ; 4-byte Folded Spill
	v_lshrrev_b32_e32 v23, 16, v37
	v_add_lshl_u32 v48, v14, v50, 2
	v_pack_b32_f16 v14, v17, v19
	v_pack_b32_f16 v17, v32, v54
	ds_store_b32 v24, v17 offset:72
	ds_store_2addr_b32 v48, v14, v18 offset1:9
	v_lshrrev_b32_e32 v14, 16, v33
	v_lshrrev_b32_e32 v19, 16, v36
	ds_store_b32 v48, v20 offset:72
	v_lshrrev_b32_e32 v123, 16, v65
	v_lshrrev_b32_e32 v124, 16, v66
	s_delay_alu instid0(VALU_DEP_2) | instskip(NEXT) | instid1(VALU_DEP_2)
	v_mul_f16_e32 v18, v33, v123
	v_mul_f16_e32 v32, v36, v124
	;; [unrolled: 1-line block ×4, first 2 shown]
	s_delay_alu instid0(VALU_DEP_4) | instskip(NEXT) | instid1(VALU_DEP_4)
	v_fmac_f16_e32 v18, v14, v65
	v_fmac_f16_e32 v32, v19, v66
	v_lshrrev_b32_e32 v14, 16, v38
	v_fma_f16 v17, v33, v65, -v17
	v_fma_f16 v22, v36, v66, -v22
	v_lshrrev_b32_e32 v36, 16, v35
	v_add_f16_e32 v47, v18, v32
	v_lshrrev_b32_e32 v131, 16, v67
	v_lshrrev_b32_e32 v130, 16, v68
	s_delay_alu instid0(VALU_DEP_2) | instskip(NEXT) | instid1(VALU_DEP_2)
	v_mul_f16_e64 v19, v38, v131
	v_mul_f16_e64 v24, v23, v130
	v_mul_f16_e64 v33, v37, v130
	s_delay_alu instid0(VALU_DEP_3) | instskip(SKIP_1) | instid1(VALU_DEP_4)
	v_fmac_f16_e32 v19, v14, v67
	v_mul_f16_e64 v14, v14, v131
	v_fma_f16 v24, v37, v68, -v24
	s_delay_alu instid0(VALU_DEP_4) | instskip(NEXT) | instid1(VALU_DEP_3)
	v_fmac_f16_e32 v33, v23, v68
	v_fma_f16 v14, v38, v67, -v14
	v_add_f16_e32 v38, v36, v19
	s_delay_alu instid0(VALU_DEP_2) | instskip(SKIP_2) | instid1(VALU_DEP_3)
	v_add_f16_e32 v23, v14, v24
	v_add_f16_e32 v37, v35, v14
	v_sub_f16_e32 v14, v14, v24
	v_fmac_f16_e32 v35, -0.5, v23
	v_add_f16_e32 v23, v19, v33
	v_sub_f16_e32 v19, v19, v33
	s_delay_alu instid0(VALU_DEP_2) | instskip(NEXT) | instid1(VALU_DEP_2)
	v_fmac_f16_e32 v36, -0.5, v23
	v_fmamk_f16 v23, v19, 0x3aee, v35
	v_fmac_f16_e32 v35, 0xbaee, v19
	s_delay_alu instid0(VALU_DEP_3) | instskip(SKIP_2) | instid1(VALU_DEP_2)
	v_fmamk_f16 v19, v14, 0xbaee, v36
	v_fmac_f16_e32 v36, 0x3aee, v14
	v_add_f16_e32 v14, v17, v22
	v_pack_b32_f16 v35, v35, v36
	v_lshrrev_b32_e32 v36, 16, v34
	s_delay_alu instid0(VALU_DEP_3) | instskip(SKIP_2) | instid1(VALU_DEP_4)
	v_fma_f16 v14, -0.5, v14, v34
	v_add_f16_e32 v34, v34, v17
	v_sub_f16_e32 v17, v17, v22
	v_add_f16_e32 v46, v36, v18
	v_sub_f16_e32 v18, v18, v32
	s_delay_alu instid0(VALU_DEP_4) | instskip(SKIP_3) | instid1(VALU_DEP_3)
	v_add_f16_e32 v34, v34, v22
	v_fmac_f16_e32 v36, -0.5, v47
	v_mad_u16 v22, v103, 27, v105
	v_add_f16_e32 v32, v46, v32
	v_fmamk_f16 v46, v17, 0xbaee, v36
	s_delay_alu instid0(VALU_DEP_3) | instskip(NEXT) | instid1(VALU_DEP_3)
	v_and_b32_e32 v20, 0xffff, v22
	v_pack_b32_f16 v32, v34, v32
	v_fmamk_f16 v34, v18, 0x3aee, v14
	v_fmac_f16_e32 v14, 0xbaee, v18
	v_fmac_f16_e32 v36, 0x3aee, v17
	v_lshlrev_b32_e32 v22, 2, v20
	v_mad_u16 v20, v106, 27, v107
	v_add_f16_e32 v17, v37, v24
	v_add_f16_e32 v18, v38, v33
	v_pack_b32_f16 v14, v14, v36
	v_pack_b32_f16 v34, v34, v46
	v_lshrrev_b32_e32 v133, 16, v69
	v_lshrrev_b32_e32 v136, 16, v70
	v_pack_b32_f16 v17, v17, v18
	ds_store_b32 v22, v14 offset:72
	v_and_b32_e32 v14, 0xffff, v20
	v_pack_b32_f16 v18, v23, v19
	ds_store_2addr_b32 v22, v32, v34 offset1:9
	v_mul_f16_e64 v19, v42, v136
	v_lshrrev_b32_e32 v20, 16, v40
	v_lshlrev_b32_e32 v24, 2, v14
	v_lshrrev_b32_e32 v14, 16, v39
	scratch_store_b32 off, v22, off offset:228 ; 4-byte Folded Spill
	v_lshrrev_b32_e32 v143, 16, v72
	v_lshrrev_b32_e32 v148, 16, v71
	ds_store_2addr_b32 v24, v17, v18 offset1:9
	v_mul_f16_e64 v18, v39, v133
	v_mul_f16_e64 v17, v14, v133
	scratch_store_b32 off, v24, off offset:232 ; 4-byte Folded Spill
	ds_store_b32 v24, v35 offset:72
	v_lshrrev_b32_e32 v151, 16, v73
	v_fmac_f16_e32 v18, v14, v69
	v_lshrrev_b32_e32 v14, 16, v42
	v_fma_f16 v17, v39, v69, -v17
	v_lshrrev_b32_e32 v149, 16, v74
	s_delay_alu instid0(VALU_DEP_4) | instskip(NEXT) | instid1(VALU_DEP_4)
	v_add_f16_e32 v22, v20, v18
	v_fmac_f16_e32 v19, v14, v70
	v_mul_f16_e64 v14, v14, v136
	s_delay_alu instid0(VALU_DEP_2) | instskip(SKIP_2) | instid1(VALU_DEP_4)
	v_add_f16_e32 v23, v18, v19
	v_sub_f16_e32 v18, v18, v19
	v_add_f16_e32 v19, v22, v19
	v_fma_f16 v14, v42, v70, -v14
	v_add_f16_e32 v22, v40, v17
	v_fmac_f16_e32 v20, -0.5, v23
	s_delay_alu instid0(VALU_DEP_3) | instskip(NEXT) | instid1(VALU_DEP_3)
	v_add_f16_e32 v23, v17, v14
	v_add_f16_e32 v22, v22, v14
	v_sub_f16_e32 v14, v17, v14
	v_mad_u16 v17, v108, 27, v111
	s_delay_alu instid0(VALU_DEP_3) | instskip(SKIP_1) | instid1(VALU_DEP_3)
	v_pack_b32_f16 v19, v22, v19
	v_fma_f16 v22, -0.5, v23, v40
	v_and_b32_e32 v17, 0xffff, v17
	v_fmamk_f16 v24, v14, 0xbaee, v20
	v_fmac_f16_e32 v20, 0x3aee, v14
	v_lshrrev_b32_e32 v14, 16, v44
	v_fmamk_f16 v23, v18, 0x3aee, v22
	v_lshlrev_b32_e32 v34, 2, v17
	scratch_store_b32 off, v48, off offset:224 ; 4-byte Folded Spill
	v_lshrrev_b32_e32 v17, 16, v43
	v_fmac_f16_e32 v22, 0xbaee, v18
	v_pack_b32_f16 v23, v23, v24
	v_lshrrev_b32_e32 v24, 16, v41
	scratch_store_b32 off, v34, off offset:220 ; 4-byte Folded Spill
	v_pack_b32_f16 v20, v22, v20
	ds_store_2addr_b32 v34, v19, v23 offset1:9
	v_mul_f16_e64 v23, v43, v143
	v_mul_f16_e64 v19, v17, v143
	ds_store_b32 v34, v20 offset:72
	v_fmac_f16_e32 v23, v17, v72
	v_mul_f16_e64 v17, v44, v148
	v_fma_f16 v19, v43, v72, -v19
	s_delay_alu instid0(VALU_DEP_2) | instskip(SKIP_1) | instid1(VALU_DEP_2)
	v_fmac_f16_e32 v17, v14, v71
	v_mul_f16_e64 v14, v14, v148
	v_add_f16_e32 v33, v17, v23
	s_delay_alu instid0(VALU_DEP_2) | instskip(NEXT) | instid1(VALU_DEP_1)
	v_fma_f16 v14, v44, v71, -v14
	v_add_f16_e32 v18, v14, v19
	v_add_f16_e32 v32, v41, v14
	v_sub_f16_e32 v14, v14, v19
	s_delay_alu instid0(VALU_DEP_3)
	v_fmac_f16_e32 v41, -0.5, v18
	v_add_f16_e32 v18, v24, v17
	v_sub_f16_e32 v17, v17, v23
	v_fmac_f16_e32 v24, -0.5, v33
	v_add_f16_e32 v22, v32, v19
	v_mad_u16 v19, v109, 27, v112
	v_add_f16_e32 v18, v18, v23
	v_fmamk_f16 v20, v17, 0x3aee, v41
	v_fmac_f16_e32 v41, 0xbaee, v17
	v_lshrrev_b32_e32 v17, 16, v45
	v_and_b32_e32 v19, 0xffff, v19
	v_pack_b32_f16 v18, v22, v18
	v_fmamk_f16 v22, v14, 0xbaee, v24
	v_fmac_f16_e32 v24, 0x3aee, v14
	v_lshrrev_b32_e32 v23, 16, v21
	v_lshlrev_b32_e32 v33, 2, v19
	v_mul_f16_e64 v19, v45, v151
	v_pack_b32_f16 v20, v20, v22
	v_mul_f16_e64 v22, v114, v149
	v_pack_b32_f16 v14, v41, v24
	s_delay_alu instid0(VALU_DEP_4)
	v_fmac_f16_e32 v19, v17, v73
	ds_store_2addr_b32 v33, v18, v20 offset1:9
	v_mul_f16_e64 v18, v17, v151
	v_lshrrev_b32_e32 v17, 16, v114
	ds_store_b32 v33, v14 offset:72
	v_fma_f16 v18, v45, v73, -v18
	v_mul_f16_e64 v20, v17, v149
	v_fmac_f16_e32 v22, v17, v74
	s_delay_alu instid0(VALU_DEP_3) | instskip(NEXT) | instid1(VALU_DEP_3)
	v_add_f16_e32 v24, v21, v18
	v_fma_f16 v20, v114, v74, -v20
	s_delay_alu instid0(VALU_DEP_1) | instskip(NEXT) | instid1(VALU_DEP_1)
	v_add_f16_e32 v17, v18, v20
	v_fmac_f16_e32 v21, -0.5, v17
	v_sub_f16_e32 v17, v19, v22
	s_delay_alu instid0(VALU_DEP_1) | instskip(SKIP_3) | instid1(VALU_DEP_2)
	v_fmamk_f16 v32, v17, 0x3aee, v21
	v_fmac_f16_e32 v21, 0xbaee, v17
	v_add_f16_e32 v17, v19, v22
	v_add_f16_e32 v19, v23, v19
	v_fmac_f16_e32 v23, -0.5, v17
	v_sub_f16_e32 v17, v18, v20
	v_add_f16_e32 v20, v24, v20
	s_delay_alu instid0(VALU_DEP_4) | instskip(NEXT) | instid1(VALU_DEP_3)
	v_add_f16_e32 v19, v19, v22
	v_fmamk_f16 v18, v17, 0xbaee, v23
	v_fmac_f16_e32 v23, 0x3aee, v17
	s_delay_alu instid0(VALU_DEP_3) | instskip(NEXT) | instid1(VALU_DEP_3)
	v_pack_b32_f16 v14, v20, v19
	v_pack_b32_f16 v18, v32, v18
	s_delay_alu instid0(VALU_DEP_3) | instskip(SKIP_1) | instid1(VALU_DEP_1)
	v_pack_b32_f16 v17, v21, v23
	v_mad_u16 v21, v110, 27, v113
	v_and_b32_e32 v19, 0xffff, v21
	s_delay_alu instid0(VALU_DEP_1)
	v_lshlrev_b32_e32 v19, 2, v19
	s_clause 0x1
	scratch_store_b32 off, v33, off offset:236
	scratch_store_b32 off, v19, off offset:240
	ds_store_2addr_b32 v19, v14, v18 offset1:9
	v_mul_u32_u24_e32 v14, 0x2f69, v10
	ds_store_b32 v19, v17 offset:72
	global_wb scope:SCOPE_SE
	s_wait_storecnt_dscnt 0x0
	s_barrier_signal -1
	s_barrier_wait -1
	v_lshrrev_b32_e32 v14, 16, v14
	global_inv scope:SCOPE_SE
	v_mul_u32_u24_e32 v10, 0x6523, v10
	v_sub_nc_u16 v17, v11, v14
	s_delay_alu instid0(VALU_DEP_2) | instskip(NEXT) | instid1(VALU_DEP_2)
	v_lshrrev_b32_e32 v10, 21, v10
	v_lshrrev_b16 v17, 1, v17
	s_delay_alu instid0(VALU_DEP_2) | instskip(NEXT) | instid1(VALU_DEP_2)
	v_mul_lo_u16 v10, 0x51, v10
	v_add_nc_u16 v14, v17, v14
	v_mul_u32_u24_e32 v17, 0x2f69, v9
	v_mul_u32_u24_e32 v9, 0x6523, v9
	s_delay_alu instid0(VALU_DEP_3) | instskip(NEXT) | instid1(VALU_DEP_3)
	v_lshrrev_b16 v14, 4, v14
	v_lshrrev_b32_e32 v17, 16, v17
	s_delay_alu instid0(VALU_DEP_1) | instskip(NEXT) | instid1(VALU_DEP_1)
	v_sub_nc_u16 v18, v7, v17
	v_lshrrev_b16 v18, 1, v18
	s_delay_alu instid0(VALU_DEP_1) | instskip(SKIP_2) | instid1(VALU_DEP_3)
	v_add_nc_u16 v36, v18, v17
	v_mul_lo_u16 v17, v12, 27
	v_mul_lo_u16 v12, 0x51, v12
	v_lshrrev_b16 v178, 4, v36
	s_delay_alu instid0(VALU_DEP_3) | instskip(NEXT) | instid1(VALU_DEP_3)
	v_sub_nc_u16 v17, v15, v17
	v_and_b32_e32 v12, 0xff, v12
	s_delay_alu instid0(VALU_DEP_2) | instskip(SKIP_1) | instid1(VALU_DEP_2)
	v_and_b32_e32 v13, 0xff, v17
	v_mul_lo_u16 v17, v102, 27
	v_add_lshl_u32 v144, v12, v13, 2
	v_lshlrev_b32_e32 v12, 3, v13
	v_mul_lo_u16 v13, v3, 19
	s_delay_alu instid0(VALU_DEP_4) | instskip(SKIP_1) | instid1(VALU_DEP_3)
	v_sub_nc_u16 v17, v29, v17
	v_mul_lo_u16 v3, 0xcb, v3
	v_lshrrev_b16 v103, 9, v13
	v_mul_lo_u16 v13, v0, 19
	s_delay_alu instid0(VALU_DEP_4) | instskip(SKIP_1) | instid1(VALU_DEP_3)
	v_and_b32_e32 v106, 0xff, v17
	v_mul_lo_u16 v0, 0xcb, v0
	v_lshrrev_b16 v105, 9, v13
	v_mul_lo_u16 v13, v103, 27
	v_and_b32_e32 v103, 0xffff, v103
	s_delay_alu instid0(VALU_DEP_3) | instskip(NEXT) | instid1(VALU_DEP_3)
	v_mul_lo_u16 v18, v105, 27
	v_sub_nc_u16 v13, v30, v13
	s_delay_alu instid0(VALU_DEP_3) | instskip(NEXT) | instid1(VALU_DEP_3)
	v_mul_u32_u24_e32 v103, 0x51, v103
	v_sub_nc_u16 v18, v177, v18
	s_delay_alu instid0(VALU_DEP_3) | instskip(NEXT) | instid1(VALU_DEP_2)
	v_and_b32_e32 v107, 0xff, v13
	v_and_b32_e32 v108, 0xff, v18
	global_load_b64 v[17:18], v12, s[10:11] offset:96
	v_lshlrev_b32_e32 v12, 3, v106
	v_lshlrev_b32_e32 v13, 3, v108
	global_load_b64 v[19:20], v12, s[10:11] offset:96
	v_lshlrev_b32_e32 v12, 3, v107
	s_clause 0x1
	global_load_b64 v[21:22], v12, s[10:11] offset:96
	global_load_b64 v[23:24], v13, s[10:11] offset:96
	ds_load_2addr_b32 v[12:13], v26 offset0:110 offset1:173
	s_wait_dscnt 0x0
	v_lshrrev_b32_e32 v32, 16, v12
	s_wait_loadcnt 0x3
	v_lshrrev_b32_e32 v35, 16, v18
	v_lshrrev_b32_e32 v42, 16, v17
	s_delay_alu instid0(VALU_DEP_2) | instskip(SKIP_3) | instid1(VALU_DEP_3)
	v_mul_f16_e32 v33, v32, v35
	s_wait_loadcnt 0x2
	v_lshrrev_b32_e32 v39, 16, v20
	v_mul_f16_e32 v38, v12, v35
	v_fma_f16 v37, v12, v18, -v33
	v_lshrrev_b32_e32 v33, 16, v13
	v_mul_u32_u24_e32 v12, 0x2f69, v8
	v_mul_f16_e32 v110, v13, v39
	v_fmac_f16_e32 v38, v32, v18
	s_delay_alu instid0(VALU_DEP_4) | instskip(NEXT) | instid1(VALU_DEP_4)
	v_mul_f16_e32 v34, v33, v39
	v_lshrrev_b32_e32 v12, 16, v12
	s_delay_alu instid0(VALU_DEP_4) | instskip(SKIP_1) | instid1(VALU_DEP_4)
	v_fmac_f16_e32 v110, v33, v20
	v_lshrrev_b32_e32 v33, 16, v19
	v_fma_f16 v109, v13, v20, -v34
	s_delay_alu instid0(VALU_DEP_4) | instskip(NEXT) | instid1(VALU_DEP_1)
	v_sub_nc_u16 v13, v5, v12
	v_lshrrev_b16 v13, 1, v13
	s_delay_alu instid0(VALU_DEP_1)
	v_add_nc_u16 v39, v13, v12
	ds_load_2addr_b32 v[12:13], v25 offset0:118 offset1:181
	v_lshrrev_b16 v179, 4, v39
	s_wait_dscnt 0x0
	v_lshrrev_b32_e32 v32, 16, v12
	v_mul_f16_e32 v34, v12, v33
	s_delay_alu instid0(VALU_DEP_1) | instskip(SKIP_1) | instid1(VALU_DEP_1)
	v_fmac_f16_e32 v34, v32, v19
	v_mul_f16_e32 v32, v32, v33
	v_fma_f16 v12, v12, v19, -v32
	ds_load_2addr_b32 v[32:33], v116 offset1:63
	v_add_f16_e32 v35, v12, v109
	s_wait_dscnt 0x0
	v_lshrrev_b32_e32 v40, 16, v33
	v_add_f16_e32 v111, v33, v12
	s_delay_alu instid0(VALU_DEP_3)
	v_fmac_f16_e32 v33, -0.5, v35
	v_add_f16_e32 v35, v34, v110
	v_sub_f16_e32 v12, v12, v109
	v_add_f16_e32 v112, v40, v34
	v_sub_f16_e32 v34, v34, v110
	v_lshrrev_b32_e32 v134, 16, v32
	v_fmac_f16_e32 v40, -0.5, v35
	v_add_f16_e32 v109, v111, v109
	v_add_f16_e32 v110, v112, v110
	v_fmamk_f16 v113, v34, 0x3aee, v33
	v_fmac_f16_e32 v33, 0xbaee, v34
	ds_load_2addr_b32 v[34:35], v94 offset0:120 offset1:183
	v_fmamk_f16 v114, v12, 0xbaee, v40
	v_fmac_f16_e32 v40, 0x3aee, v12
	s_wait_loadcnt 0x1
	v_lshrrev_b32_e32 v112, 16, v22
	s_delay_alu instid0(VALU_DEP_2) | instskip(SKIP_1) | instid1(VALU_DEP_1)
	v_pack_b32_f16 v132, v33, v40
	v_mul_u32_u24_e32 v33, 0x2f69, v6
	v_lshrrev_b32_e32 v33, 16, v33
	s_wait_dscnt 0x0
	v_lshrrev_b32_e32 v12, 16, v35
	v_mul_f16_e32 v41, v35, v42
	s_delay_alu instid0(VALU_DEP_1) | instskip(SKIP_1) | instid1(VALU_DEP_2)
	v_fmac_f16_e32 v41, v12, v17
	v_mul_f16_e32 v12, v12, v42
	v_sub_f16_e64 v135, v41, v38
	s_delay_alu instid0(VALU_DEP_2) | instskip(NEXT) | instid1(VALU_DEP_1)
	v_fma_f16 v12, v35, v17, -v12
	v_add_f16_e32 v35, v12, v37
	s_delay_alu instid0(VALU_DEP_1) | instskip(SKIP_3) | instid1(VALU_DEP_3)
	v_fma_f16 v115, -0.5, v35, v32
	v_sub_nc_u16 v35, v1, v33
	v_add_f16_e32 v32, v32, v12
	v_sub_f16_e32 v12, v12, v37
	v_lshrrev_b16 v35, 1, v35
	s_delay_alu instid0(VALU_DEP_3) | instskip(SKIP_1) | instid1(VALU_DEP_3)
	v_add_f16_e32 v32, v32, v37
	v_add_f16_e32 v37, v41, v38
	v_add_nc_u16 v35, v35, v33
	v_add_f16_e64 v33, v134, v41
	s_delay_alu instid0(VALU_DEP_3) | instskip(SKIP_1) | instid1(VALU_DEP_4)
	v_fmac_f16_e64 v134, -0.5, v37
	v_mul_u32_u24_e32 v37, 0x2f69, v4
	v_lshrrev_b16 v180, 4, v35
	s_delay_alu instid0(VALU_DEP_4) | instskip(NEXT) | instid1(VALU_DEP_3)
	v_add_f16_e32 v33, v33, v38
	v_lshrrev_b32_e32 v37, 16, v37
	s_delay_alu instid0(VALU_DEP_2) | instskip(SKIP_2) | instid1(VALU_DEP_4)
	v_pack_b32_f16 v138, v32, v33
	v_fma_f16 v32, 0x3aee, v135, v115
	v_fma_f16 v33, 0xbaee, v12, v134
	v_sub_nc_u16 v38, v2, v37
	v_fmac_f16_e64 v134, 0x3aee, v12
	v_and_b32_e32 v12, 0xffff, v102
	v_fmac_f16_e64 v115, 0xbaee, v135
	v_pack_b32_f16 v140, v32, v33
	v_mul_lo_u16 v32, v14, 27
	v_lshrrev_b16 v38, 1, v38
	v_mul_u32_u24_e32 v12, 0x51, v12
	v_pack_b32_f16 v102, v115, v134
	s_delay_alu instid0(VALU_DEP_4) | instskip(NEXT) | instid1(VALU_DEP_4)
	v_sub_nc_u16 v141, v11, v32
	v_add_nc_u16 v40, v38, v37
	s_delay_alu instid0(VALU_DEP_4)
	v_add_lshl_u32 v111, v12, v106, 2
	v_pack_b32_f16 v12, v109, v110
	v_pack_b32_f16 v106, v113, v114
	v_lshlrev_b16 v32, 3, v141
	v_lshrrev_b16 v181, 4, v40
	v_add_lshl_u32 v110, v103, v107, 2
	s_delay_alu instid0(VALU_DEP_3) | instskip(NEXT) | instid1(VALU_DEP_3)
	v_and_b32_e32 v32, 0xffff, v32
	v_mul_lo_u16 v35, v181, 27
	s_delay_alu instid0(VALU_DEP_2) | instskip(SKIP_2) | instid1(VALU_DEP_3)
	v_add_co_u32 v32, s2, s10, v32
	s_wait_alu 0xf1ff
	v_add_co_ci_u32_e64 v33, null, s11, 0, s2
	v_sub_nc_u16 v185, v2, v35
	global_load_b64 v[37:38], v[32:33], off offset:96
	v_mul_lo_u16 v32, v178, 27
	v_mul_lo_u16 v33, v180, 27
	s_delay_alu instid0(VALU_DEP_2) | instskip(SKIP_1) | instid1(VALU_DEP_3)
	v_sub_nc_u16 v182, v7, v32
	v_mul_lo_u16 v32, v179, 27
	v_sub_nc_u16 v184, v1, v33
	s_delay_alu instid0(VALU_DEP_2) | instskip(NEXT) | instid1(VALU_DEP_4)
	v_sub_nc_u16 v183, v5, v32
	v_lshlrev_b16 v32, 3, v182
	s_delay_alu instid0(VALU_DEP_1) | instskip(NEXT) | instid1(VALU_DEP_1)
	v_and_b32_e32 v32, 0xffff, v32
	v_add_co_u32 v32, s2, s10, v32
	s_wait_alu 0xf1ff
	v_add_co_ci_u32_e64 v33, null, s11, 0, s2
	global_load_b64 v[39:40], v[32:33], off offset:96
	v_lshlrev_b16 v33, 3, v184
	v_lshlrev_b16 v32, 3, v183
	s_delay_alu instid0(VALU_DEP_2) | instskip(SKIP_1) | instid1(VALU_DEP_3)
	v_and_b32_e32 v35, 0xffff, v33
	v_lshlrev_b16 v33, 3, v185
	v_and_b32_e32 v32, 0xffff, v32
	s_delay_alu instid0(VALU_DEP_2) | instskip(NEXT) | instid1(VALU_DEP_2)
	v_and_b32_e32 v41, 0xffff, v33
	v_add_co_u32 v32, s2, s10, v32
	s_wait_alu 0xf1ff
	v_add_co_ci_u32_e64 v33, null, s11, 0, s2
	v_add_co_u32 v35, s2, s10, v35
	s_wait_alu 0xf1ff
	v_add_co_ci_u32_e64 v36, null, s11, 0, s2
	v_add_co_u32 v41, s2, s10, v41
	s_wait_alu 0xf1ff
	v_add_co_ci_u32_e64 v42, null, s11, 0, s2
	s_clause 0x2
	global_load_b64 v[43:44], v[32:33], off offset:96
	global_load_b64 v[45:46], v[35:36], off offset:96
	;; [unrolled: 1-line block ×3, first 2 shown]
	ds_load_b32 v186, v116 offset:6552
	ds_load_2addr_b32 v[32:33], v116 offset0:126 offset1:189
	ds_load_2addr_b32 v[35:36], v104 offset0:108 offset1:171
	;; [unrolled: 1-line block ×9, first 2 shown]
	global_wb scope:SCOPE_SE
	s_wait_loadcnt_dscnt 0x0
	s_barrier_signal -1
	s_barrier_wait -1
	global_inv scope:SCOPE_SE
	ds_store_2addr_b32 v144, v138, v140 offset1:27
	scratch_store_b32 off, v144, off offset:144 ; 4-byte Folded Spill
	ds_store_b32 v144, v102 offset:216
	ds_store_2addr_b32 v111, v12, v106 offset1:27
	v_lshrrev_b32_e32 v12, 16, v13
	v_lshrrev_b32_e32 v106, 16, v21
	scratch_store_b32 off, v111, off offset:152 ; 4-byte Folded Spill
	v_mul_f16_e32 v103, v35, v112
	v_mul_f16_e32 v102, v12, v106
	s_delay_alu instid0(VALU_DEP_1) | instskip(SKIP_2) | instid1(VALU_DEP_2)
	v_fma_f16 v102, v13, v21, -v102
	v_mul_f16_e32 v13, v13, v106
	v_lshrrev_b32_e32 v106, 16, v32
	v_fmac_f16_e32 v13, v12, v21
	v_lshrrev_b32_e32 v12, 16, v35
	s_delay_alu instid0(VALU_DEP_2) | instskip(NEXT) | instid1(VALU_DEP_2)
	v_add_f16_e32 v107, v106, v13
	v_fmac_f16_e32 v103, v12, v22
	v_mul_f16_e32 v12, v12, v112
	s_delay_alu instid0(VALU_DEP_2) | instskip(NEXT) | instid1(VALU_DEP_2)
	v_sub_f16_e32 v109, v13, v103
	v_fma_f16 v12, v35, v22, -v12
	v_add_f16_e32 v13, v13, v103
	v_add_f16_e32 v103, v107, v103
	;; [unrolled: 1-line block ×3, first 2 shown]
	s_delay_alu instid0(VALU_DEP_4) | instskip(NEXT) | instid1(VALU_DEP_4)
	v_add_f16_e32 v107, v102, v12
	v_fmac_f16_e32 v106, -0.5, v13
	s_delay_alu instid0(VALU_DEP_3) | instskip(SKIP_1) | instid1(VALU_DEP_4)
	v_add_f16_e32 v35, v35, v12
	v_sub_f16_e32 v12, v102, v12
	v_fma_f16 v32, -0.5, v107, v32
	s_delay_alu instid0(VALU_DEP_3) | instskip(NEXT) | instid1(VALU_DEP_3)
	v_pack_b32_f16 v13, v35, v103
	v_fmamk_f16 v102, v12, 0xbaee, v106
	s_delay_alu instid0(VALU_DEP_3)
	v_fmamk_f16 v35, v109, 0x3aee, v32
	v_lshrrev_b32_e32 v103, 16, v23
	v_fmac_f16_e32 v106, 0x3aee, v12
	v_fmac_f16_e32 v32, 0xbaee, v109
	v_lshrrev_b32_e32 v109, 21, v9
	v_pack_b32_f16 v35, v35, v102
	ds_store_b32 v111, v132 offset:216
	ds_store_2addr_b32 v110, v13, v35 offset1:27
	v_lshrrev_b32_e32 v13, 16, v36
	v_lshrrev_b32_e32 v102, 16, v24
	v_pack_b32_f16 v32, v32, v106
	scratch_store_b32 off, v110, off offset:148 ; 4-byte Folded Spill
	v_lshrrev_b16 v132, 14, v0
	v_mul_lo_u16 v9, 0x51, v109
	v_mul_f16_e32 v35, v13, v102
	s_delay_alu instid0(VALU_DEP_3) | instskip(NEXT) | instid1(VALU_DEP_2)
	v_mul_lo_u16 v0, 0x51, v132
	v_fma_f16 v35, v36, v24, -v35
	v_mul_f16_e32 v36, v36, v102
	v_mul_f16_e32 v102, v41, v103
	s_delay_alu instid0(VALU_DEP_4) | instskip(NEXT) | instid1(VALU_DEP_3)
	v_sub_nc_u16 v0, v177, v0
	v_fmac_f16_e32 v36, v13, v24
	v_lshrrev_b32_e32 v13, 16, v41
	s_delay_alu instid0(VALU_DEP_3) | instskip(SKIP_1) | instid1(VALU_DEP_3)
	v_and_b32_e32 v135, 0xff, v0
	v_lshlrev_b32_e32 v0, 3, v156
	v_fmac_f16_e32 v102, v13, v23
	v_mul_f16_e32 v13, v13, v103
	v_lshrrev_b32_e32 v103, 16, v33
	s_delay_alu instid0(VALU_DEP_2) | instskip(NEXT) | instid1(VALU_DEP_2)
	v_fma_f16 v13, v41, v23, -v13
	v_add_f16_e32 v12, v103, v102
	s_delay_alu instid0(VALU_DEP_2) | instskip(SKIP_1) | instid1(VALU_DEP_3)
	v_add_f16_e32 v41, v13, v35
	v_add_f16_e32 v107, v33, v13
	;; [unrolled: 1-line block ×3, first 2 shown]
	v_sub_f16_e32 v13, v13, v35
	s_delay_alu instid0(VALU_DEP_4)
	v_fmac_f16_e32 v33, -0.5, v41
	v_add_f16_e32 v41, v102, v36
	v_sub_f16_e32 v102, v102, v36
	v_and_b32_e32 v36, 0xffff, v105
	v_add_f16_e32 v35, v107, v35
	v_lshrrev_b16 v107, 14, v3
	v_fmac_f16_e32 v103, -0.5, v41
	s_delay_alu instid0(VALU_DEP_4) | instskip(NEXT) | instid1(VALU_DEP_4)
	v_mul_u32_u24_e32 v36, 0x51, v36
	v_pack_b32_f16 v12, v35, v12
	v_fmamk_f16 v35, v102, 0x3aee, v33
	v_fmac_f16_e32 v33, 0xbaee, v102
	v_mul_lo_u16 v3, 0x51, v107
	v_add_lshl_u32 v105, v36, v108, 2
	v_fmamk_f16 v36, v13, 0xbaee, v103
	v_fmac_f16_e32 v103, 0x3aee, v13
	v_lshrrev_b32_e32 v13, 16, v42
	v_sub_nc_u16 v3, v30, v3
	v_sub_nc_u16 v108, v11, v10
	v_pack_b32_f16 v35, v35, v36
	ds_store_b32 v110, v32 offset:216
	ds_store_2addr_b32 v105, v12, v35 offset1:27
	v_pack_b32_f16 v12, v33, v103
	v_lshrrev_b32_e32 v36, 16, v47
	v_sub_nc_u16 v110, v7, v9
	v_mul_u32_u24_e32 v7, 0x6523, v8
	v_and_b32_e32 v134, 0xff, v3
	ds_store_b32 v105, v12 offset:216
	v_mad_u16 v12, 0x51, v14, v141
	v_lshrrev_b32_e32 v111, 21, v7
	s_delay_alu instid0(VALU_DEP_2) | instskip(NEXT) | instid1(VALU_DEP_2)
	v_and_b32_e32 v12, 0xffff, v12
	v_mul_lo_u16 v7, 0x51, v111
	s_delay_alu instid0(VALU_DEP_1) | instskip(SKIP_1) | instid1(VALU_DEP_1)
	v_sub_nc_u16 v112, v5, v7
	v_mul_u32_u24_e32 v5, 0x6523, v6
	v_lshrrev_b32_e32 v113, 21, v5
	s_delay_alu instid0(VALU_DEP_1) | instskip(NEXT) | instid1(VALU_DEP_1)
	v_mul_lo_u16 v5, 0x51, v113
	v_sub_nc_u16 v114, v1, v5
	v_mul_u32_u24_e32 v1, 0x6523, v4
	s_delay_alu instid0(VALU_DEP_1) | instskip(NEXT) | instid1(VALU_DEP_1)
	v_lshrrev_b32_e32 v1, 21, v1
	v_mul_lo_u16 v1, 0x51, v1
	s_delay_alu instid0(VALU_DEP_1) | instskip(SKIP_2) | instid1(VALU_DEP_2)
	v_sub_nc_u16 v115, v2, v1
	v_lshrrev_b32_e32 v33, 16, v37
	v_lshrrev_b32_e32 v102, 16, v38
	v_mul_f16_e32 v32, v13, v33
	v_mul_f16_e32 v33, v42, v33
	s_delay_alu instid0(VALU_DEP_3) | instskip(NEXT) | instid1(VALU_DEP_3)
	v_mul_f16_e32 v35, v51, v102
	v_fma_f16 v32, v42, v37, -v32
	s_delay_alu instid0(VALU_DEP_3) | instskip(SKIP_1) | instid1(VALU_DEP_2)
	v_fmac_f16_e32 v33, v13, v37
	v_lshrrev_b32_e32 v13, 16, v51
	v_add_f16_e32 v41, v36, v33
	s_delay_alu instid0(VALU_DEP_2) | instskip(SKIP_1) | instid1(VALU_DEP_2)
	v_fmac_f16_e32 v35, v13, v38
	v_mul_f16_e32 v13, v13, v102
	v_add_f16_e32 v42, v33, v35
	s_delay_alu instid0(VALU_DEP_2)
	v_fma_f16 v13, v51, v38, -v13
	v_sub_f16_e32 v33, v33, v35
	v_add_f16_e32 v35, v41, v35
	v_add_f16_e32 v41, v47, v32
	v_fmac_f16_e32 v36, -0.5, v42
	v_add_f16_e32 v42, v32, v13
	v_lshlrev_b32_e32 v51, 2, v12
	v_lshrrev_b32_e32 v220, 16, v40
	v_add_f16_e32 v41, v41, v13
	v_sub_f16_e32 v13, v32, v13
	v_fma_f16 v32, -0.5, v42, v47
	v_lshrrev_b32_e32 v12, 16, v52
	v_lshrrev_b32_e32 v221, 16, v39
	v_pack_b32_f16 v14, v41, v35
	v_fmamk_f16 v41, v13, 0xbaee, v36
	v_fmamk_f16 v35, v33, 0x3aee, v32
	v_fmac_f16_e32 v36, 0x3aee, v13
	v_mul_f16_e64 v13, v53, v221
	v_fmac_f16_e32 v32, 0xbaee, v33
	scratch_store_b32 off, v51, off offset:156 ; 4-byte Folded Spill
	v_pack_b32_f16 v35, v35, v41
	v_lshrrev_b32_e32 v41, 16, v48
	v_pack_b32_f16 v32, v32, v36
	ds_store_2addr_b32 v51, v14, v35 offset1:27
	v_mul_f16_e64 v35, v52, v220
	v_mul_f16_e64 v14, v12, v220
	ds_store_b32 v51, v32 offset:216
	v_fmac_f16_e32 v35, v12, v40
	v_lshrrev_b32_e32 v12, 16, v53
	v_fma_f16 v14, v52, v40, -v14
	v_lshrrev_b32_e32 v225, 16, v43
	v_lshrrev_b32_e32 v228, 16, v44
	;; [unrolled: 1-line block ×3, first 2 shown]
	v_fmac_f16_e32 v13, v12, v39
	v_mul_f16_e64 v12, v12, v221
	v_lshrrev_b32_e32 v233, 16, v45
	v_lshrrev_b32_e32 v240, 16, v49
	;; [unrolled: 1-line block ×3, first 2 shown]
	v_add_f16_e32 v47, v13, v35
	v_fma_f16 v12, v53, v39, -v12
	s_delay_alu instid0(VALU_DEP_1) | instskip(SKIP_2) | instid1(VALU_DEP_3)
	v_add_f16_e32 v33, v12, v14
	v_add_f16_e32 v42, v48, v12
	v_sub_f16_e32 v12, v12, v14
	v_fmac_f16_e32 v48, -0.5, v33
	v_add_f16_e32 v33, v41, v13
	v_sub_f16_e32 v13, v13, v35
	v_fmac_f16_e32 v41, -0.5, v47
	s_delay_alu instid0(VALU_DEP_3) | instskip(SKIP_2) | instid1(VALU_DEP_2)
	v_add_f16_e32 v33, v33, v35
	v_add_f16_e32 v35, v42, v14
	v_mad_u16 v14, 0x51, v178, v182
	v_pack_b32_f16 v32, v35, v33
	v_fmamk_f16 v33, v13, 0x3aee, v48
	v_fmamk_f16 v35, v12, 0xbaee, v41
	s_delay_alu instid0(VALU_DEP_4)
	v_and_b32_e32 v14, 0xffff, v14
	v_fmac_f16_e32 v48, 0xbaee, v13
	v_lshrrev_b32_e32 v13, 16, v54
	v_fmac_f16_e32 v41, 0x3aee, v12
	v_pack_b32_f16 v33, v33, v35
	v_lshlrev_b32_e32 v42, 2, v14
	v_lshrrev_b32_e32 v35, 16, v55
	v_mul_f16_e64 v14, v13, v225
	v_pack_b32_f16 v12, v48, v41
	ds_store_2addr_b32 v42, v32, v33 offset1:27
	v_mul_f16_e64 v32, v54, v225
	v_mul_f16_e64 v33, v98, v228
	v_fma_f16 v14, v54, v43, -v14
	ds_store_b32 v42, v12 offset:216
	v_mad_u16 v12, 0x51, v179, v183
	v_fmac_f16_e32 v32, v13, v43
	v_lshrrev_b32_e32 v13, 16, v98
	s_delay_alu instid0(VALU_DEP_3) | instskip(NEXT) | instid1(VALU_DEP_3)
	v_and_b32_e32 v12, 0xffff, v12
	v_add_f16_e32 v36, v35, v32
	s_delay_alu instid0(VALU_DEP_3) | instskip(SKIP_1) | instid1(VALU_DEP_4)
	v_fmac_f16_e32 v33, v13, v44
	v_mul_f16_e64 v13, v13, v228
	v_lshlrev_b32_e32 v48, 2, v12
	v_lshrrev_b32_e32 v12, 16, v99
	s_delay_alu instid0(VALU_DEP_4)
	v_add_f16_e32 v41, v32, v33
	v_sub_f16_e32 v32, v32, v33
	v_add_f16_e32 v33, v36, v33
	v_fma_f16 v13, v98, v44, -v13
	v_add_f16_e32 v36, v55, v14
	v_fmac_f16_e32 v35, -0.5, v41
	s_clause 0x1
	scratch_store_b32 off, v105, off offset:160
	scratch_store_b32 off, v48, off offset:164
	v_add_f16_e32 v41, v14, v13
	v_add_f16_e32 v36, v36, v13
	v_sub_f16_e32 v13, v14, v13
	scratch_store_b32 off, v42, off offset:172 ; 4-byte Folded Spill
	v_pack_b32_f16 v14, v36, v33
	v_fma_f16 v33, -0.5, v41, v55
	v_fmamk_f16 v41, v13, 0xbaee, v35
	v_fmac_f16_e32 v35, 0x3aee, v13
	v_mul_f16_e64 v13, v100, v233
	s_delay_alu instid0(VALU_DEP_4) | instskip(SKIP_1) | instid1(VALU_DEP_2)
	v_fmamk_f16 v36, v32, 0x3aee, v33
	v_fmac_f16_e32 v33, 0xbaee, v32
	v_pack_b32_f16 v36, v36, v41
	v_lshrrev_b32_e32 v41, 16, v56
	s_delay_alu instid0(VALU_DEP_3)
	v_pack_b32_f16 v33, v33, v35
	ds_store_2addr_b32 v48, v14, v36 offset1:27
	v_mul_f16_e64 v36, v99, v232
	v_mul_f16_e64 v14, v12, v232
	ds_store_b32 v48, v33 offset:216
	v_fmac_f16_e32 v36, v12, v46
	v_lshrrev_b32_e32 v12, 16, v100
	v_fma_f16 v14, v99, v46, -v14
	s_delay_alu instid0(VALU_DEP_2) | instskip(SKIP_1) | instid1(VALU_DEP_2)
	v_fmac_f16_e32 v13, v12, v45
	v_mul_f16_e64 v12, v12, v233
	v_add_f16_e32 v47, v13, v36
	s_delay_alu instid0(VALU_DEP_2) | instskip(NEXT) | instid1(VALU_DEP_1)
	v_fma_f16 v12, v100, v45, -v12
	v_add_f16_e32 v32, v12, v14
	v_add_f16_e32 v42, v56, v12
	v_sub_f16_e32 v12, v12, v14
	s_delay_alu instid0(VALU_DEP_3)
	v_fmac_f16_e32 v56, -0.5, v32
	v_add_f16_e32 v32, v41, v13
	v_sub_f16_e32 v13, v13, v36
	v_fmac_f16_e32 v41, -0.5, v47
	v_add_f16_e32 v35, v42, v14
	v_mad_u16 v14, 0x51, v180, v184
	v_add_f16_e32 v32, v32, v36
	v_fmamk_f16 v33, v13, 0x3aee, v56
	v_fmac_f16_e32 v56, 0xbaee, v13
	v_lshrrev_b32_e32 v13, 16, v101
	v_and_b32_e32 v14, 0xffff, v14
	v_pack_b32_f16 v32, v35, v32
	v_fmamk_f16 v35, v12, 0xbaee, v41
	v_fmac_f16_e32 v41, 0x3aee, v12
	v_lshrrev_b32_e32 v36, 16, v34
	v_lshlrev_b32_e32 v47, 2, v14
	v_mul_f16_e64 v14, v13, v240
	v_pack_b32_f16 v33, v33, v35
	v_mul_f16_e64 v35, v186, v238
	v_pack_b32_f16 v12, v56, v41
	s_delay_alu instid0(VALU_DEP_4)
	v_fma_f16 v14, v101, v49, -v14
	ds_store_2addr_b32 v47, v32, v33 offset1:27
	v_mul_f16_e64 v32, v101, v240
	ds_store_b32 v47, v12 offset:216
	v_mad_u16 v12, 0x51, v181, v185
	v_add_f16_e32 v41, v34, v14
	v_fmac_f16_e32 v32, v13, v49
	v_lshrrev_b32_e32 v13, 16, v186
	s_delay_alu instid0(VALU_DEP_4) | instskip(NEXT) | instid1(VALU_DEP_2)
	v_and_b32_e32 v12, 0xffff, v12
	v_mul_f16_e64 v33, v13, v238
	v_fmac_f16_e32 v35, v13, v50
	s_delay_alu instid0(VALU_DEP_2) | instskip(NEXT) | instid1(VALU_DEP_2)
	v_fma_f16 v33, v186, v50, -v33
	v_add_f16_e32 v42, v32, v35
	s_delay_alu instid0(VALU_DEP_2) | instskip(SKIP_1) | instid1(VALU_DEP_2)
	v_add_f16_e32 v13, v14, v33
	v_sub_f16_e32 v14, v14, v33
	v_fmac_f16_e32 v34, -0.5, v13
	v_add_f16_e32 v13, v36, v32
	v_sub_f16_e32 v32, v32, v35
	v_fmac_f16_e32 v36, -0.5, v42
	s_delay_alu instid0(VALU_DEP_3) | instskip(SKIP_1) | instid1(VALU_DEP_4)
	v_add_f16_e32 v13, v13, v35
	v_add_f16_e32 v35, v41, v33
	v_fmamk_f16 v33, v32, 0x3aee, v34
	v_fmac_f16_e32 v34, 0xbaee, v32
	s_delay_alu instid0(VALU_DEP_3) | instskip(SKIP_2) | instid1(VALU_DEP_2)
	v_pack_b32_f16 v13, v35, v13
	v_fmamk_f16 v35, v14, 0xbaee, v36
	v_fmac_f16_e32 v36, 0x3aee, v14
	v_pack_b32_f16 v33, v33, v35
	v_lshlrev_b32_e32 v35, 2, v12
	v_add_co_u32 v12, s2, 0xffffffee, v156
	s_clause 0x1
	scratch_store_b32 off, v47, off offset:184
	scratch_store_b32 off, v35, off offset:200
	ds_store_2addr_b32 v35, v13, v33 offset1:27
	s_wait_alu 0xf1ff
	v_add_co_ci_u32_e64 v13, null, 0, -1, s2
	v_cndmask_b32_e32 v12, v12, v29, vcc_lo
	v_pack_b32_f16 v29, v34, v36
	s_delay_alu instid0(VALU_DEP_3)
	v_cndmask_b32_e32 v13, v13, v31, vcc_lo
	ds_store_b32 v35, v29 offset:216
	global_wb scope:SCOPE_SE
	s_wait_storecnt_dscnt 0x0
	v_lshlrev_b64_e32 v[13:14], 3, v[12:13]
	s_barrier_signal -1
	s_barrier_wait -1
	global_inv scope:SCOPE_SE
	global_load_b64 v[29:30], v0, s[10:11] offset:312
	v_lshlrev_b32_e32 v0, 3, v134
	v_add_co_u32 v13, vcc_lo, s10, v13
	s_wait_alu 0xfffd
	v_add_co_ci_u32_e32 v14, vcc_lo, s11, v14, vcc_lo
	v_cmp_lt_u16_e32 vcc_lo, 17, v15
	global_load_b64 v[33:34], v0, s[10:11] offset:312
	v_lshlrev_b32_e32 v0, 3, v135
	ds_load_2addr_b32 v[99:100], v94 offset0:120 offset1:183
	ds_load_2addr_b32 v[2:3], v116 offset1:63
	s_wait_alu 0xfffd
	v_cndmask_b32_e64 v31, 0, 0xf3, vcc_lo
	v_cmp_gt_u16_e32 vcc_lo, 54, v15
	global_load_b64 v[35:36], v0, s[10:11] offset:312
	ds_load_2addr_b32 v[0:1], v26 offset0:110 offset1:173
	v_add_lshl_u32 v144, v12, v31, 2
	global_load_b64 v[31:32], v[13:14], off offset:312
	s_wait_dscnt 0x2
	v_lshrrev_b32_e32 v4, 16, v100
	s_wait_dscnt 0x1
	v_lshrrev_b32_e32 v14, 16, v2
	;; [unrolled: 2-line block ×3, first 2 shown]
	s_wait_loadcnt 0x3
	v_lshrrev_b32_e32 v9, 16, v29
	v_lshrrev_b32_e32 v10, 16, v30
	s_delay_alu instid0(VALU_DEP_2) | instskip(NEXT) | instid1(VALU_DEP_2)
	v_mul_f16_e32 v5, v100, v9
	v_mul_f16_e32 v7, v0, v10
	s_delay_alu instid0(VALU_DEP_2) | instskip(NEXT) | instid1(VALU_DEP_2)
	v_fmac_f16_e32 v5, v4, v29
	v_fmac_f16_e32 v7, v6, v30
	v_mul_f16_e32 v4, v4, v9
	v_mul_f16_e32 v6, v6, v10
	s_wait_loadcnt 0x1
	v_lshrrev_b32_e32 v219, 16, v35
	v_add_f16_e32 v8, v14, v5
	v_sub_f16_e64 v138, v5, v7
	v_fma_f16 v4, v100, v29, -v4
	v_fma_f16 v0, v0, v30, -v6
	v_add_f16_e32 v5, v5, v7
	v_add_f16_e32 v7, v8, v7
	s_wait_loadcnt 0x0
	v_lshrrev_b32_e32 v146, 16, v32
	v_add_f16_e32 v6, v2, v4
	v_add_f16_e32 v8, v4, v0
	v_fmac_f16_e32 v14, -0.5, v5
	s_delay_alu instid0(VALU_DEP_3) | instskip(SKIP_1) | instid1(VALU_DEP_4)
	v_add_f16_e32 v6, v6, v0
	v_sub_f16_e32 v0, v4, v0
	v_fma_f16 v2, -0.5, v8, v2
	s_delay_alu instid0(VALU_DEP_3) | instskip(NEXT) | instid1(VALU_DEP_3)
	v_pack_b32_f16 v140, v6, v7
	v_fmamk_f16 v5, v0, 0xbaee, v14
	s_delay_alu instid0(VALU_DEP_3) | instskip(SKIP_2) | instid1(VALU_DEP_3)
	v_fma_f16 v4, 0x3aee, v138, v2
	v_fmac_f16_e64 v2, 0xbaee, v138
	v_fmac_f16_e32 v14, 0x3aee, v0
	v_pack_b32_f16 v141, v4, v5
	v_lshlrev_b16 v4, 3, v108
	s_delay_alu instid0(VALU_DEP_1) | instskip(NEXT) | instid1(VALU_DEP_1)
	v_and_b32_e32 v4, 0xffff, v4
	v_add_co_u32 v4, s2, s10, v4
	s_wait_alu 0xf1ff
	v_add_co_ci_u32_e64 v5, null, s11, 0, s2
	global_load_b64 v[41:42], v[4:5], off offset:312
	v_lshlrev_b16 v5, 3, v112
	v_lshlrev_b16 v4, 3, v110
	s_delay_alu instid0(VALU_DEP_2) | instskip(SKIP_1) | instid1(VALU_DEP_3)
	v_and_b32_e32 v6, 0xffff, v5
	v_lshlrev_b16 v5, 3, v114
	v_and_b32_e32 v4, 0xffff, v4
	s_delay_alu instid0(VALU_DEP_2) | instskip(SKIP_1) | instid1(VALU_DEP_3)
	v_and_b32_e32 v8, 0xffff, v5
	v_lshlrev_b16 v5, 3, v115
	v_add_co_u32 v4, s2, s10, v4
	s_delay_alu instid0(VALU_DEP_2)
	v_and_b32_e32 v10, 0xffff, v5
	s_wait_alu 0xf1ff
	v_add_co_ci_u32_e64 v5, null, s11, 0, s2
	v_add_co_u32 v6, s2, s10, v6
	s_wait_alu 0xf1ff
	v_add_co_ci_u32_e64 v7, null, s11, 0, s2
	v_add_co_u32 v8, s2, s10, v8
	;; [unrolled: 3-line block ×3, first 2 shown]
	s_wait_alu 0xf1ff
	v_add_co_ci_u32_e64 v11, null, s11, 0, s2
	s_clause 0x3
	global_load_b64 v[47:48], v[4:5], off offset:312
	global_load_b64 v[51:52], v[6:7], off offset:312
	global_load_b64 v[53:54], v[8:9], off offset:312
	global_load_b64 v[55:56], v[10:11], off offset:312
	ds_load_2addr_b32 v[4:5], v95 offset0:116 offset1:179
	ds_load_2addr_b32 v[6:7], v96 offset0:124 offset1:187
	;; [unrolled: 1-line block ×3, first 2 shown]
	ds_load_b32 v180, v116 offset:6552
	ds_load_2addr_b32 v[10:11], v25 offset0:118 offset1:181
	ds_load_2addr_b32 v[12:13], v116 offset0:126 offset1:189
	;; [unrolled: 1-line block ×7, first 2 shown]
	global_wb scope:SCOPE_SE
	s_wait_loadcnt_dscnt 0x0
	s_barrier_signal -1
	s_barrier_wait -1
	global_inv scope:SCOPE_SE
	ds_store_2addr_b32 v116, v140, v141 offset1:81
	v_lshrrev_b32_e32 v140, 16, v1
	s_load_b64 s[2:3], s[0:1], 0x38
	s_delay_alu instid0(VALU_DEP_1) | instskip(NEXT) | instid1(VALU_DEP_1)
	v_mul_f16_e64 v141, v140, v146
	v_fma_f16 v141, v1, v32, -v141
	v_mul_f16_e64 v1, v1, v146
	v_lshrrev_b32_e32 v146, 16, v31
	s_delay_alu instid0(VALU_DEP_2) | instskip(SKIP_1) | instid1(VALU_DEP_3)
	v_fmac_f16_e64 v1, v140, v32
	v_lshrrev_b32_e32 v140, 16, v10
	v_mul_f16_e64 v178, v10, v146
	s_delay_alu instid0(VALU_DEP_1) | instskip(SKIP_1) | instid1(VALU_DEP_2)
	v_fmac_f16_e64 v178, v140, v31
	v_mul_f16_e64 v140, v140, v146
	v_sub_f16_e64 v182, v178, v1
	s_delay_alu instid0(VALU_DEP_2) | instskip(NEXT) | instid1(VALU_DEP_1)
	v_fma_f16 v10, v10, v31, -v140
	v_add_f16_e64 v140, v3, v10
	v_add_f16_e64 v179, v10, v141
	v_sub_f16_e64 v10, v10, v141
	s_delay_alu instid0(VALU_DEP_3) | instskip(SKIP_1) | instid1(VALU_DEP_4)
	v_add_f16_e64 v140, v140, v141
	v_lshrrev_b32_e32 v141, 16, v3
	v_fmac_f16_e64 v3, -0.5, v179
	v_lshrrev_b32_e32 v179, 16, v101
	s_delay_alu instid0(VALU_DEP_3) | instskip(SKIP_1) | instid1(VALU_DEP_2)
	v_add_f16_e64 v181, v141, v178
	v_add_f16_e64 v178, v178, v1
	;; [unrolled: 1-line block ×3, first 2 shown]
	s_delay_alu instid0(VALU_DEP_2) | instskip(NEXT) | instid1(VALU_DEP_2)
	v_fmac_f16_e64 v141, -0.5, v178
	v_pack_b32_f16 v0, v140, v1
	v_pack_b32_f16 v1, v2, v14
	v_fma_f16 v2, 0x3aee, v182, v3
	s_delay_alu instid0(VALU_DEP_4) | instskip(SKIP_3) | instid1(VALU_DEP_4)
	v_fma_f16 v14, 0xbaee, v10, v141
	v_fmac_f16_e64 v3, 0xbaee, v182
	v_fmac_f16_e64 v141, 0x3aee, v10
	v_lshrrev_b32_e32 v140, 16, v34
	v_pack_b32_f16 v2, v2, v14
	ds_store_b32 v116, v1 offset:648
	ds_store_2addr_b32 v144, v0, v2 offset1:81
	v_pack_b32_f16 v0, v3, v141
	v_lshrrev_b32_e32 v1, 16, v11
	v_lshrrev_b32_e32 v3, 16, v33
	v_mul_f16_e64 v10, v95, v140
	scratch_store_b32 off, v144, off offset:140 ; 4-byte Folded Spill
	v_mul_f16_e32 v2, v1, v3
	v_mul_f16_e32 v3, v11, v3
	s_delay_alu instid0(VALU_DEP_2) | instskip(NEXT) | instid1(VALU_DEP_2)
	v_fma_f16 v2, v11, v33, -v2
	v_fmac_f16_e32 v3, v1, v33
	v_lshrrev_b32_e32 v1, 16, v95
	v_lshrrev_b32_e32 v11, 16, v12
	s_delay_alu instid0(VALU_DEP_2) | instskip(NEXT) | instid1(VALU_DEP_2)
	v_fmac_f16_e32 v10, v1, v34
	v_add_f16_e32 v14, v11, v3
	v_mul_f16_e64 v1, v1, v140
	s_delay_alu instid0(VALU_DEP_3) | instskip(SKIP_1) | instid1(VALU_DEP_4)
	v_add_f16_e64 v138, v3, v10
	v_sub_f16_e32 v3, v3, v10
	v_add_f16_e32 v10, v14, v10
	s_delay_alu instid0(VALU_DEP_4) | instskip(SKIP_2) | instid1(VALU_DEP_3)
	v_fma_f16 v1, v95, v34, -v1
	v_add_f16_e32 v14, v12, v2
	v_fmac_f16_e64 v11, -0.5, v138
	v_add_f16_e32 v95, v2, v1
	s_delay_alu instid0(VALU_DEP_3) | instskip(SKIP_2) | instid1(VALU_DEP_1)
	v_add_f16_e32 v14, v14, v1
	v_sub_f16_e32 v1, v2, v1
	v_and_b32_e32 v2, 0xffff, v107
	v_mul_u32_u24_e32 v2, 0xf3, v2
	s_delay_alu instid0(VALU_DEP_1)
	v_add_lshl_u32 v107, v2, v134, 2
	v_pack_b32_f16 v2, v14, v10
	v_fma_f16 v10, -0.5, v95, v12
	v_fmamk_f16 v14, v1, 0xbaee, v11
	v_fmac_f16_e32 v11, 0x3aee, v1
	v_mul_f16_e64 v1, v4, v219
	s_delay_alu instid0(VALU_DEP_4) | instskip(SKIP_1) | instid1(VALU_DEP_2)
	v_fmamk_f16 v12, v3, 0x3aee, v10
	v_fmac_f16_e32 v10, 0xbaee, v3
	v_pack_b32_f16 v12, v12, v14
	ds_store_b32 v144, v0 offset:648
	ds_store_2addr_b32 v107, v2, v12 offset1:81
	v_lshrrev_b32_e32 v0, 16, v96
	v_lshrrev_b32_e32 v12, 16, v36
	scratch_store_b32 off, v107, off offset:176 ; 4-byte Folded Spill
	v_mul_f16_e32 v2, v0, v12
	v_mul_f16_e32 v12, v96, v12
	s_delay_alu instid0(VALU_DEP_2) | instskip(NEXT) | instid1(VALU_DEP_2)
	v_fma_f16 v2, v96, v36, -v2
	v_fmac_f16_e32 v12, v0, v36
	v_lshrrev_b32_e32 v0, 16, v4
	s_delay_alu instid0(VALU_DEP_1) | instskip(SKIP_1) | instid1(VALU_DEP_2)
	v_fmac_f16_e32 v1, v0, v35
	v_mul_f16_e64 v0, v0, v219
	v_add_f16_e32 v95, v1, v12
	s_delay_alu instid0(VALU_DEP_2) | instskip(SKIP_1) | instid1(VALU_DEP_2)
	v_fma_f16 v0, v4, v35, -v0
	v_lshrrev_b32_e32 v4, 16, v13
	v_add_f16_e32 v3, v0, v2
	v_add_f16_e32 v14, v13, v0
	v_sub_f16_e32 v0, v0, v2
	s_delay_alu instid0(VALU_DEP_3) | instskip(SKIP_3) | instid1(VALU_DEP_3)
	v_fmac_f16_e32 v13, -0.5, v3
	v_add_f16_e32 v3, v4, v1
	v_sub_f16_e32 v1, v1, v12
	v_fmac_f16_e32 v4, -0.5, v95
	v_add_f16_e32 v3, v3, v12
	v_add_f16_e32 v12, v14, v2
	v_pack_b32_f16 v2, v10, v11
	v_and_b32_e32 v10, 0xffff, v132
	v_fmamk_f16 v11, v0, 0xbaee, v4
	v_fmac_f16_e32 v4, 0x3aee, v0
	v_pack_b32_f16 v3, v12, v3
	s_delay_alu instid0(VALU_DEP_4) | instskip(NEXT) | instid1(VALU_DEP_1)
	v_mul_u32_u24_e32 v10, 0xf3, v10
	v_add_lshl_u32 v14, v10, v135, 2
	v_fmamk_f16 v10, v1, 0x3aee, v13
	v_fmac_f16_e32 v13, 0xbaee, v1
	v_lshrrev_b32_e32 v1, 16, v5
	s_delay_alu instid0(VALU_DEP_3)
	v_pack_b32_f16 v10, v10, v11
	ds_store_b32 v107, v2 offset:648
	ds_store_2addr_b32 v14, v3, v10 offset1:81
	v_pack_b32_f16 v0, v13, v4
	ds_store_b32 v14, v0 offset:648
	v_lshrrev_b32_e32 v222, 16, v41
	v_lshrrev_b32_e32 v223, 16, v42
	s_delay_alu instid0(VALU_DEP_2) | instskip(SKIP_1) | instid1(VALU_DEP_3)
	v_mul_f16_e64 v3, v5, v222
	v_mul_f16_e64 v2, v1, v222
	;; [unrolled: 1-line block ×3, first 2 shown]
	s_delay_alu instid0(VALU_DEP_3) | instskip(SKIP_1) | instid1(VALU_DEP_4)
	v_fmac_f16_e32 v3, v1, v41
	v_lshrrev_b32_e32 v1, 16, v97
	v_fma_f16 v2, v5, v41, -v2
	v_lshrrev_b32_e32 v5, 16, v6
	s_delay_alu instid0(VALU_DEP_3) | instskip(SKIP_1) | instid1(VALU_DEP_3)
	v_fmac_f16_e32 v4, v1, v42
	v_mul_f16_e64 v1, v1, v223
	v_add_f16_e32 v10, v5, v3
	s_delay_alu instid0(VALU_DEP_3) | instskip(NEXT) | instid1(VALU_DEP_3)
	v_add_f16_e32 v11, v3, v4
	v_fma_f16 v1, v97, v42, -v1
	v_sub_f16_e32 v3, v3, v4
	s_delay_alu instid0(VALU_DEP_4) | instskip(SKIP_4) | instid1(VALU_DEP_4)
	v_add_f16_e32 v4, v10, v4
	v_add_f16_e32 v10, v6, v2
	v_fmac_f16_e32 v5, -0.5, v11
	v_add_f16_e32 v11, v2, v1
	v_add_co_u32 v97, s0, s8, v116
	v_add_f16_e32 v10, v10, v1
	v_sub_f16_e32 v1, v2, v1
	s_delay_alu instid0(VALU_DEP_4)
	v_fma_f16 v2, -0.5, v11, v6
	v_lshrrev_b32_e32 v227, 16, v48
	v_lshrrev_b32_e32 v230, 16, v47
	v_pack_b32_f16 v0, v10, v4
	v_fmamk_f16 v6, v1, 0xbaee, v5
	v_fmamk_f16 v4, v3, 0x3aee, v2
	v_fmac_f16_e32 v5, 0x3aee, v1
	v_mul_f16_e64 v1, v102, v230
	v_fmac_f16_e32 v2, 0xbaee, v3
	v_lshrrev_b32_e32 v10, 16, v7
	v_pack_b32_f16 v4, v4, v6
	v_and_b32_e32 v6, 0xffff, v108
	v_lshrrev_b32_e32 v234, 16, v51
	v_pack_b32_f16 v2, v2, v5
	v_lshrrev_b32_e32 v236, 16, v52
	v_lshrrev_b32_e32 v239, 16, v54
	v_lshlrev_b32_e32 v13, 2, v6
	v_lshrrev_b32_e32 v241, 16, v53
	v_lshrrev_b32_e32 v250, 16, v55
	;; [unrolled: 1-line block ×3, first 2 shown]
	s_delay_alu instid0(VALU_DEP_4)
	v_add_nc_u32_e32 v6, 0xa00, v13
	ds_store_b32 v13, v2 offset:3564
	v_mad_u16 v2, 0xf3, v109, v110
	ds_store_2addr_b32 v6, v0, v4 offset0:89 offset1:170
	v_lshrrev_b32_e32 v0, 16, v98
	v_mul_f16_e64 v6, v98, v227
	v_and_b32_e32 v2, 0xffff, v2
	s_delay_alu instid0(VALU_DEP_3) | instskip(NEXT) | instid1(VALU_DEP_3)
	v_mul_f16_e64 v4, v0, v227
	v_fmac_f16_e32 v6, v0, v48
	v_lshrrev_b32_e32 v0, 16, v102
	s_delay_alu instid0(VALU_DEP_3) | instskip(SKIP_2) | instid1(VALU_DEP_3)
	v_fma_f16 v4, v98, v48, -v4
	s_wait_alu 0xf1ff
	v_add_co_ci_u32_e64 v98, null, s9, 0, s0
	v_fmac_f16_e32 v1, v0, v47
	v_mul_f16_e64 v0, v0, v230
	s_delay_alu instid0(VALU_DEP_2) | instskip(NEXT) | instid1(VALU_DEP_2)
	v_add_f16_e32 v12, v1, v6
	v_fma_f16 v0, v102, v47, -v0
	s_delay_alu instid0(VALU_DEP_1) | instskip(SKIP_2) | instid1(VALU_DEP_3)
	v_add_f16_e32 v3, v0, v4
	v_add_f16_e32 v11, v7, v0
	v_sub_f16_e32 v0, v0, v4
	v_fmac_f16_e32 v7, -0.5, v3
	v_add_f16_e32 v3, v10, v1
	v_sub_f16_e32 v1, v1, v6
	v_fmac_f16_e32 v10, -0.5, v12
	v_add_f16_e32 v5, v11, v4
	v_lshlrev_b32_e32 v11, 2, v2
	v_add_f16_e32 v3, v3, v6
	v_fmamk_f16 v4, v1, 0x3aee, v7
	v_fmac_f16_e32 v7, 0xbaee, v1
	v_lshrrev_b32_e32 v1, 16, v103
	s_delay_alu instid0(VALU_DEP_4) | instskip(SKIP_2) | instid1(VALU_DEP_4)
	v_pack_b32_f16 v3, v5, v3
	v_fmamk_f16 v5, v0, 0xbaee, v10
	v_fmac_f16_e32 v10, 0x3aee, v0
	v_mul_f16_e64 v2, v1, v234
	s_delay_alu instid0(VALU_DEP_3) | instskip(SKIP_1) | instid1(VALU_DEP_3)
	v_pack_b32_f16 v4, v4, v5
	v_lshrrev_b32_e32 v5, 16, v100
	v_fma_f16 v2, v103, v51, -v2
	v_pack_b32_f16 v0, v7, v10
	ds_store_2addr_b32 v11, v3, v4 offset1:81
	v_mul_f16_e64 v3, v103, v234
	v_mul_f16_e64 v4, v8, v236
	ds_store_b32 v11, v0 offset:648
	v_mad_u16 v0, 0xf3, v111, v112
	v_fmac_f16_e32 v3, v1, v51
	v_lshrrev_b32_e32 v1, 16, v8
	s_delay_alu instid0(VALU_DEP_3) | instskip(NEXT) | instid1(VALU_DEP_3)
	v_and_b32_e32 v0, 0xffff, v0
	v_add_f16_e32 v6, v5, v3
	s_delay_alu instid0(VALU_DEP_3) | instskip(SKIP_1) | instid1(VALU_DEP_4)
	v_fmac_f16_e32 v4, v1, v52
	v_mul_f16_e64 v1, v1, v236
	v_lshlrev_b32_e32 v10, 2, v0
	v_lshrrev_b32_e32 v0, 16, v9
	scratch_store_b32 off, v11, off offset:168 ; 4-byte Folded Spill
	v_add_f16_e32 v7, v3, v4
	v_sub_f16_e32 v3, v3, v4
	scratch_store_b32 off, v10, off offset:180 ; 4-byte Folded Spill
	v_add_f16_e32 v4, v6, v4
	v_fma_f16 v1, v8, v52, -v1
	v_add_f16_e32 v6, v100, v2
	v_fmac_f16_e32 v5, -0.5, v7
	scratch_store_b32 off, v13, off offset:188 ; 4-byte Folded Spill
	v_add_f16_e32 v7, v2, v1
	v_add_f16_e32 v6, v6, v1
	v_sub_f16_e32 v1, v2, v1
	s_delay_alu instid0(VALU_DEP_2) | instskip(NEXT) | instid1(VALU_DEP_4)
	v_pack_b32_f16 v2, v6, v4
	v_fma_f16 v4, -0.5, v7, v100
	s_delay_alu instid0(VALU_DEP_3) | instskip(SKIP_2) | instid1(VALU_DEP_4)
	v_fmamk_f16 v7, v1, 0xbaee, v5
	v_fmac_f16_e32 v5, 0x3aee, v1
	v_mul_f16_e64 v1, v105, v241
	v_fmamk_f16 v6, v3, 0x3aee, v4
	v_fmac_f16_e32 v4, 0xbaee, v3
	s_delay_alu instid0(VALU_DEP_2) | instskip(SKIP_3) | instid1(VALU_DEP_2)
	v_pack_b32_f16 v6, v6, v7
	ds_store_2addr_b32 v10, v2, v6 offset1:81
	v_mul_f16_e64 v6, v9, v239
	v_mul_f16_e64 v2, v0, v239
	v_fmac_f16_e32 v6, v0, v54
	v_lshrrev_b32_e32 v0, 16, v105
	s_delay_alu instid0(VALU_DEP_3) | instskip(NEXT) | instid1(VALU_DEP_2)
	v_fma_f16 v2, v9, v54, -v2
	v_fmac_f16_e32 v1, v0, v53
	v_mul_f16_e64 v0, v0, v241
	s_delay_alu instid0(VALU_DEP_2) | instskip(NEXT) | instid1(VALU_DEP_2)
	v_add_f16_e32 v8, v1, v6
	v_fma_f16 v0, v105, v53, -v0
	s_delay_alu instid0(VALU_DEP_1) | instskip(SKIP_2) | instid1(VALU_DEP_3)
	v_add_f16_e32 v3, v0, v2
	v_add_f16_e32 v7, v101, v0
	v_sub_f16_e32 v0, v0, v2
	v_fmac_f16_e32 v101, -0.5, v3
	v_pack_b32_f16 v3, v4, v5
	v_mad_u16 v4, 0xf3, v113, v114
	v_add_f16_e64 v5, v179, v1
	v_sub_f16_e32 v1, v1, v6
	v_fmac_f16_e64 v179, -0.5, v8
	ds_store_b32 v10, v3 offset:648
	v_and_b32_e32 v3, 0xffff, v4
	v_add_f16_e64 v134, v5, v6
	v_add_f16_e32 v102, v7, v2
	v_fmamk_f16 v103, v1, 0x3aee, v101
	v_fma_f16 v178, 0xbaee, v0, v179
	v_lshlrev_b32_e32 v7, 2, v3
	v_mul_f16_e64 v4, v106, v250
	v_pack_b32_f16 v2, v102, v134
	v_mul_f16_e64 v6, v180, v248
	v_pack_b32_f16 v3, v103, v178
	v_fmac_f16_e64 v179, 0x3aee, v0
	v_fmac_f16_e32 v101, 0xbaee, v1
	scratch_store_b32 off, v14, off offset:192 ; 4-byte Folded Spill
	ds_store_2addr_b32 v7, v2, v3 offset1:81
	v_lshrrev_b32_e32 v2, 16, v106
	s_delay_alu instid0(VALU_DEP_1) | instskip(SKIP_2) | instid1(VALU_DEP_3)
	v_mul_f16_e64 v3, v2, v250
	v_fmac_f16_e32 v4, v2, v55
	v_lshrrev_b32_e32 v2, 16, v180
	v_fma_f16 v3, v106, v55, -v3
	s_delay_alu instid0(VALU_DEP_2) | instskip(SKIP_1) | instid1(VALU_DEP_3)
	v_mul_f16_e64 v5, v2, v248
	v_fmac_f16_e32 v6, v2, v56
	v_add_f16_e32 v1, v99, v3
	s_delay_alu instid0(VALU_DEP_3) | instskip(SKIP_1) | instid1(VALU_DEP_4)
	v_fma_f16 v5, v180, v56, -v5
	v_lshrrev_b32_e32 v180, 16, v99
	v_add_f16_e32 v2, v4, v6
	s_delay_alu instid0(VALU_DEP_3) | instskip(SKIP_1) | instid1(VALU_DEP_2)
	v_add_f16_e32 v0, v3, v5
	v_add_f16_e32 v105, v1, v5
	v_fmac_f16_e32 v99, -0.5, v0
	v_add_f16_e64 v0, v180, v4
	v_sub_f16_e32 v4, v4, v6
	v_fmac_f16_e64 v180, -0.5, v2
	v_sub_f16_e32 v2, v3, v5
	s_delay_alu instid0(VALU_DEP_4) | instskip(SKIP_2) | instid1(VALU_DEP_4)
	v_add_f16_e64 v182, v0, v6
	v_pack_b32_f16 v0, v101, v179
	v_fmamk_f16 v100, v4, 0x3aee, v99
	v_fma_f16 v181, 0xbaee, v2, v180
	v_fmac_f16_e32 v99, 0xbaee, v4
	v_fmac_f16_e64 v180, 0x3aee, v2
	ds_store_b32 v7, v0 offset:648
	v_and_b32_e32 v0, 0xffff, v115
	v_pack_b32_f16 v1, v100, v181
	s_delay_alu instid0(VALU_DEP_2)
	v_lshlrev_b32_e32 v5, 2, v0
	scratch_store_b32 off, v7, off offset:196 ; 4-byte Folded Spill
	v_pack_b32_f16 v0, v105, v182
	scratch_store_b32 off, v5, off offset:204 ; 4-byte Folded Spill
	v_add_nc_u32_e32 v3, 0x1600, v5
	ds_store_2addr_b32 v3, v0, v1 offset0:50 offset1:131
	v_pack_b32_f16 v0, v99, v180
	ds_store_b32 v5, v0 offset:6480
	global_wb scope:SCOPE_SE
	s_wait_storecnt_dscnt 0x0
	s_wait_kmcnt 0x0
	s_barrier_signal -1
	s_barrier_wait -1
	global_inv scope:SCOPE_SE
	ds_load_2addr_b32 v[114:115], v94 offset0:102 offset1:165
	ds_load_2addr_b32 v[106:107], v25 offset0:100 offset1:217
	;; [unrolled: 1-line block ×6, first 2 shown]
	ds_load_b32 v185, v116 offset:6336
                                        ; implicit-def: $vgpr183
                                        ; implicit-def: $vgpr184
	ds_load_2addr_b32 v[14:15], v116 offset1:63
	ds_load_2addr_b32 v[8:9], v116 offset0:126 offset1:243
	ds_load_2addr_b32 v[110:111], v173 offset0:50 offset1:113
	;; [unrolled: 1-line block ×3, first 2 shown]
	s_and_saveexec_b32 s0, vcc_lo
	s_cbranch_execz .LBB0_3
; %bb.2:
	ds_load_2addr_b32 v[100:101], v104 offset0:9 offset1:252
	v_add_nc_u32_e32 v0, 0x2e0, v116
	v_add_nc_u32_e32 v1, 0xa80, v116
	s_wait_dscnt 0x0
	v_mov_b32_e32 v99, v101
	ds_load_b32 v183, v116 offset:6588
	ds_load_2addr_b32 v[102:103], v0 offset0:5 offset1:248
	ds_load_2addr_b32 v[104:105], v1 offset0:3 offset1:246
	v_lshrrev_b32_e32 v181, 16, v100
	v_lshrrev_b32_e32 v180, 16, v101
	s_wait_dscnt 0x2
	v_lshrrev_b32_e32 v184, 16, v183
	s_wait_dscnt 0x1
	v_lshrrev_b32_e32 v134, 16, v102
	v_lshrrev_b32_e32 v178, 16, v103
	s_wait_dscnt 0x0
	v_lshrrev_b32_e32 v179, 16, v104
	v_lshrrev_b32_e32 v182, 16, v105
	v_mov_b32_e32 v101, v104
.LBB0_3:
	s_wait_alu 0xfffe
	s_or_b32 exec_lo, exec_lo, s0
	v_mad_co_u64_u32 v[12:13], null, v156, 24, s[10:11]
	s_wait_dscnt 0xa
	v_lshrrev_b32_e32 v104, 16, v114
	v_lshrrev_b32_e32 v138, 16, v115
	s_wait_dscnt 0x6
	v_lshrrev_b32_e32 v192, 16, v96
	s_wait_dscnt 0x0
	v_lshrrev_b32_e32 v205, 16, v109
	s_clause 0x1
	global_load_b64 v[25:26], v[12:13], off offset:976
	global_load_b128 v[0:3], v[12:13], off offset:960
	s_wait_loadcnt 0x1
	v_lshrrev_b32_e32 v235, 16, v25
	s_wait_loadcnt 0x0
	v_lshrrev_b32_e32 v141, 16, v1
	v_lshrrev_b32_e32 v146, 16, v3
	v_lshrrev_b32_e32 v237, 16, v2
	s_delay_alu instid0(VALU_DEP_3) | instskip(NEXT) | instid1(VALU_DEP_1)
	v_mul_f16_e64 v4, v104, v141
	v_fma_f16 v132, v114, v1, -v4
	s_clause 0x1
	global_load_b64 v[27:28], v[12:13], off offset:2488
	global_load_b128 v[4:7], v[12:13], off offset:2472
	v_mul_f16_e64 v114, v114, v141
	v_lshrrev_b32_e32 v141, 16, v113
	s_delay_alu instid0(VALU_DEP_2)
	v_fmac_f16_e32 v114, v104, v1
	s_wait_loadcnt 0x0
	v_lshrrev_b32_e32 v140, 16, v5
	v_lshrrev_b32_e32 v144, 16, v7
	;; [unrolled: 1-line block ×4, first 2 shown]
	s_delay_alu instid0(VALU_DEP_4) | instskip(NEXT) | instid1(VALU_DEP_4)
	v_mul_f16_e64 v135, v138, v140
	v_mul_f16_e64 v187, v141, v144
	;; [unrolled: 1-line block ×3, first 2 shown]
	v_lshrrev_b32_e32 v144, 16, v28
	s_delay_alu instid0(VALU_DEP_4)
	v_fma_f16 v186, v115, v5, -v135
	v_mul_f16_e64 v135, v115, v140
	v_lshrrev_b32_e32 v115, 16, v112
	v_fma_f16 v187, v113, v7, -v187
	v_lshrrev_b32_e32 v113, 16, v95
	v_mul_f16_e64 v190, v96, v144
	v_fmac_f16_e64 v135, v138, v5
	v_mul_f16_e64 v140, v115, v146
	v_mul_f16_e64 v138, v107, v237
	v_fmac_f16_e64 v188, v141, v7
	v_fmac_f16_e64 v190, v192, v28
	s_delay_alu instid0(VALU_DEP_4) | instskip(SKIP_2) | instid1(VALU_DEP_2)
	v_fma_f16 v140, v112, v3, -v140
	v_mul_f16_e64 v112, v112, v146
	v_lshrrev_b32_e32 v146, 16, v26
	v_fmac_f16_e32 v112, v115, v3
	s_delay_alu instid0(VALU_DEP_2) | instskip(SKIP_1) | instid1(VALU_DEP_2)
	v_mul_f16_e64 v189, v113, v146
	v_mul_f16_e64 v115, v11, v235
	v_fma_f16 v191, v95, v26, -v189
	v_mul_f16_e64 v95, v95, v146
	v_mul_f16_e64 v189, v192, v144
	s_delay_alu instid0(VALU_DEP_2) | instskip(SKIP_1) | instid1(VALU_DEP_3)
	v_fmac_f16_e32 v95, v113, v26
	v_lshrrev_b32_e32 v113, 16, v0
	v_fma_f16 v189, v96, v28, -v189
	v_lshrrev_b32_e32 v96, 16, v9
	s_delay_alu instid0(VALU_DEP_3) | instskip(NEXT) | instid1(VALU_DEP_1)
	v_mul_f16_e32 v104, v9, v113
	v_fmac_f16_e32 v104, v96, v0
	v_mul_f16_e32 v96, v96, v113
	s_delay_alu instid0(VALU_DEP_2) | instskip(SKIP_2) | instid1(VALU_DEP_4)
	v_add_f16_e32 v113, v104, v95
	v_sub_f16_e32 v95, v104, v95
	v_lshrrev_b32_e32 v104, 16, v11
	v_fma_f16 v9, v9, v0, -v96
	s_delay_alu instid0(VALU_DEP_2) | instskip(SKIP_1) | instid1(VALU_DEP_3)
	v_fmac_f16_e32 v115, v104, v25
	v_mul_f16_e64 v104, v104, v235
	v_add_f16_e64 v96, v9, v191
	v_sub_f16_e64 v9, v9, v191
	s_delay_alu instid0(VALU_DEP_3) | instskip(NEXT) | instid1(VALU_DEP_1)
	v_fma_f16 v11, v11, v25, -v104
	v_add_f16_e64 v104, v132, v11
	v_sub_f16_e64 v11, v132, v11
	v_add_f16_e64 v132, v114, v115
	v_sub_f16_e32 v114, v114, v115
	v_lshrrev_b32_e32 v115, 16, v107
	v_sub_f16_e64 v141, v104, v96
	s_delay_alu instid0(VALU_DEP_3) | instskip(NEXT) | instid1(VALU_DEP_3)
	v_sub_f16_e64 v192, v114, v95
	v_fmac_f16_e64 v138, v115, v2
	v_mul_f16_e64 v115, v115, v237
	s_delay_alu instid0(VALU_DEP_1) | instskip(NEXT) | instid1(VALU_DEP_1)
	v_fma_f16 v107, v107, v2, -v115
	v_add_f16_e64 v115, v107, v140
	v_sub_f16_e64 v107, v140, v107
	v_add_f16_e64 v140, v138, v112
	v_sub_f16_e64 v112, v112, v138
	v_add_f16_e64 v138, v104, v96
	v_sub_f16_e32 v96, v96, v115
	v_sub_f16_e32 v104, v115, v104
	v_sub_f16_e64 v191, v140, v132
	s_delay_alu instid0(VALU_DEP_4) | instskip(SKIP_3) | instid1(VALU_DEP_3)
	v_add_f16_e64 v201, v115, v138
	v_add_f16_e64 v115, v132, v113
	v_sub_f16_e64 v138, v132, v113
	v_sub_f16_e64 v113, v113, v140
	v_add_f16_e64 v144, v140, v115
	v_add_f16_e32 v115, v107, v11
	v_sub_f16_e64 v140, v107, v11
	v_sub_f16_e32 v107, v9, v107
	v_sub_f16_e32 v11, v11, v9
	s_delay_alu instid0(VALU_DEP_4) | instskip(SKIP_3) | instid1(VALU_DEP_3)
	v_add_f16_e64 v202, v115, v9
	v_add_f16_e32 v9, v112, v114
	v_sub_f16_e32 v115, v112, v114
	v_sub_f16_e32 v112, v95, v112
	v_add_f16_e64 v203, v9, v95
	v_mul_f16_e32 v9, 0x3a52, v96
	v_mul_f16_e32 v95, 0x2b26, v104
	s_delay_alu instid0(VALU_DEP_2) | instskip(SKIP_2) | instid1(VALU_DEP_4)
	v_fmamk_f16 v96, v104, 0x2b26, v9
	v_fma_f16 v193, v141, 0xb9e0, -v9
	v_mul_f16_e32 v9, 0x3a52, v113
	v_fma_f16 v132, v141, 0x39e0, -v95
	v_mul_f16_e64 v95, 0x2b26, v191
	v_mul_f16_e32 v113, 0x3b00, v11
	s_delay_alu instid0(VALU_DEP_4)
	v_fma_f16 v194, 0x2b26, v191, v9
	v_fma_f16 v104, v138, 0xb9e0, -v9
	v_mul_f16_e64 v9, 0xb846, v140
	v_fma_f16 v195, v138, 0x39e0, -v95
	v_fma_f16 v114, v107, 0xb574, -v113
	v_lshrrev_b32_e32 v113, 16, v108
	v_lshrrev_b32_e32 v140, 16, v93
	v_fma_f16 v196, v11, 0x3b00, -v9
	v_fmamk_f16 v95, v107, 0x3574, v9
	v_mul_f16_e32 v9, 0xb846, v115
	v_mul_f16_e64 v11, 0x3b00, v192
	v_lshrrev_b32_e32 v107, 16, v27
	v_mul_f16_e64 v138, v93, v243
	v_fmac_f16_e64 v95, 0x370e, v202
	v_fma_f16 v199, v192, 0x3b00, -v9
	v_fma_f16 v197, 0x3574, v112, v9
	v_fma_f16 v115, v112, 0xb574, -v11
	v_lshrrev_b32_e32 v11, 16, v110
	v_mul_f16_e64 v9, v110, v244
	v_fmac_f16_e64 v138, v140, v6
	v_mul_f16_e64 v140, v140, v243
	v_fmac_f16_e64 v114, 0x370e, v202
	v_mul_f16_e64 v112, v11, v244
	v_fmac_f16_e32 v9, v11, v4
	v_mul_f16_e32 v11, v108, v107
	v_fma_f16 v93, v93, v6, -v140
	v_fmac_f16_e64 v197, 0x370e, v203
	v_fma_f16 v192, v110, v4, -v112
	v_lshrrev_b32_e32 v110, 16, v15
	v_fmac_f16_e32 v11, v113, v27
	v_mul_f16_e32 v113, v113, v107
	v_add_f16_e64 v200, v93, v187
	v_add_f16_e64 v198, v192, v189
	v_fmac_f16_e64 v115, 0x370e, v203
	v_fmac_f16_e64 v196, 0x370e, v202
	v_fma_f16 v191, v108, v27, -v113
	v_fmac_f16_e64 v199, 0x370e, v203
	v_lshrrev_b32_e32 v203, 16, v10
	v_sub_f16_e64 v93, v187, v93
	v_sub_f16_e64 v189, v192, v189
	v_add_f16_e64 v112, v186, v191
	v_sub_f16_e64 v186, v186, v191
	s_delay_alu instid0(VALU_DEP_2) | instskip(NEXT) | instid1(VALU_DEP_1)
	v_add_f16_e64 v108, v112, v198
	v_add_f16_e64 v140, v200, v108
	v_lshrrev_b32_e32 v108, 16, v14
	v_add_f16_e64 v14, v14, v201
	s_delay_alu instid0(VALU_DEP_3) | instskip(NEXT) | instid1(VALU_DEP_3)
	v_add_f16_e64 v141, v15, v140
	v_add_f16_e64 v15, v108, v144
	s_delay_alu instid0(VALU_DEP_3) | instskip(SKIP_1) | instid1(VALU_DEP_4)
	v_fma_f16 v108, 0xbcab, v201, v14
	v_lshrrev_b32_e32 v201, 16, v94
	v_fma_f16 v140, 0xbcab, v140, v141
	s_delay_alu instid0(VALU_DEP_4)
	v_fma_f16 v113, 0xbcab, v144, v15
	v_pack_b32_f16 v14, v14, v15
	v_add_f16_e32 v15, v96, v108
	v_add_f16_e64 v96, v132, v108
	v_add_f16_e64 v108, v193, v108
	;; [unrolled: 1-line block ×3, first 2 shown]
	v_add_f16_e32 v104, v104, v113
	v_add_f16_e64 v132, v195, v113
	v_sub_f16_e64 v113, v96, v199
	v_add_f16_e64 v194, v115, v108
	v_sub_f16_e32 v108, v108, v115
	v_sub_f16_e32 v115, v104, v114
	v_add_f16_e32 v104, v114, v104
	v_add_f16_e64 v114, v197, v15
	v_sub_f16_e64 v195, v144, v95
	v_add_f16_e64 v193, v196, v132
	v_add_f16_e64 v96, v199, v96
	v_sub_f16_e64 v132, v132, v196
	v_sub_f16_e64 v15, v15, v197
	v_add_f16_e64 v95, v95, v144
	v_pack_b32_f16 v114, v114, v195
	v_pack_b32_f16 v115, v194, v115
	;; [unrolled: 1-line block ×6, first 2 shown]
	ds_store_b32 v116, v114 offset:972
	ds_store_b32 v116, v115 offset:1944
	ds_store_b32 v116, v113 offset:2916
	ds_store_b32 v116, v96 offset:3888
	ds_store_b32 v116, v104 offset:4860
	ds_store_b32 v116, v15 offset:5832
	v_add_f16_e64 v104, v9, v190
	v_add_f16_e64 v113, v135, v11
	;; [unrolled: 1-line block ×3, first 2 shown]
	v_lshrrev_b32_e32 v193, 16, v111
	v_lshrrev_b32_e32 v196, 16, v106
	v_sub_f16_e64 v9, v9, v190
	v_add_f16_e32 v15, v113, v104
	v_sub_f16_e64 v11, v135, v11
	v_sub_f16_e64 v135, v188, v138
	s_delay_alu instid0(VALU_DEP_3) | instskip(NEXT) | instid1(VALU_DEP_1)
	v_add_f16_e32 v115, v114, v15
	v_add_f16_e64 v144, v110, v115
	s_delay_alu instid0(VALU_DEP_1)
	v_pack_b32_f16 v15, v141, v144
	v_fma_f16 v115, 0xbcab, v115, v144
	ds_store_2addr_b32 v116, v14, v15 offset1:63
	s_clause 0x1
	global_load_b64 v[95:96], v[12:13], off offset:4000
	global_load_b128 v[12:15], v[12:13], off offset:3984
	s_wait_loadcnt 0x0
	v_lshrrev_b32_e32 v132, 16, v12
	s_delay_alu instid0(VALU_DEP_1) | instskip(SKIP_1) | instid1(VALU_DEP_2)
	v_mul_f16_e64 v108, v193, v132
	v_mul_f16_e64 v195, v111, v132
	v_fma_f16 v194, v111, v12, -v108
	v_lshrrev_b32_e32 v108, 16, v13
	s_delay_alu instid0(VALU_DEP_3) | instskip(SKIP_1) | instid1(VALU_DEP_3)
	v_fmac_f16_e64 v195, v193, v12
	v_lshrrev_b32_e32 v193, 16, v185
	v_mul_f16_e64 v110, v196, v108
	v_mul_f16_e64 v199, v106, v108
	s_delay_alu instid0(VALU_DEP_2) | instskip(SKIP_1) | instid1(VALU_DEP_3)
	v_fma_f16 v197, v106, v13, -v110
	v_lshrrev_b32_e32 v106, 16, v14
	v_fmac_f16_e64 v199, v196, v13
	s_delay_alu instid0(VALU_DEP_2) | instskip(NEXT) | instid1(VALU_DEP_1)
	v_mul_f16_e64 v110, v201, v106
	v_fma_f16 v202, v94, v14, -v110
	v_lshrrev_b32_e32 v110, 16, v15
	v_mul_f16_e32 v94, v94, v106
	s_delay_alu instid0(VALU_DEP_2) | instskip(NEXT) | instid1(VALU_DEP_2)
	v_mul_f16_e64 v111, v203, v110
	v_fmac_f16_e64 v94, v201, v14
	v_lshrrev_b32_e32 v201, 16, v8
	s_delay_alu instid0(VALU_DEP_3) | instskip(SKIP_2) | instid1(VALU_DEP_2)
	v_fma_f16 v204, v10, v15, -v111
	v_lshrrev_b32_e32 v111, 16, v95
	v_mul_f16_e32 v10, v10, v110
	v_mul_f16_e64 v206, v205, v111
	v_mul_f16_e64 v207, v109, v111
	s_delay_alu instid0(VALU_DEP_3) | instskip(NEXT) | instid1(VALU_DEP_3)
	v_fmac_f16_e64 v10, v203, v15
	v_fma_f16 v206, v109, v95, -v206
	v_lshrrev_b32_e32 v109, 16, v96
	s_delay_alu instid0(VALU_DEP_4) | instskip(NEXT) | instid1(VALU_DEP_3)
	v_fmac_f16_e64 v207, v205, v95
	v_add_f16_e64 v190, v197, v206
	s_delay_alu instid0(VALU_DEP_3) | instskip(SKIP_3) | instid1(VALU_DEP_4)
	v_mul_f16_e64 v196, v193, v109
	v_sub_f16_e64 v191, v197, v206
	v_sub_f16_e64 v197, v198, v200
	v_add_f16_e64 v192, v199, v207
	v_fma_f16 v196, v185, v96, -v196
	v_mul_f16_e64 v185, v185, v109
	s_delay_alu instid0(VALU_DEP_2)
	v_add_f16_e64 v138, v194, v196
	v_sub_f16_e64 v187, v194, v196
	v_add_f16_e64 v196, v94, v10
	v_sub_f16_e32 v10, v10, v94
	v_sub_f16_e64 v94, v112, v198
	v_sub_f16_e64 v198, v113, v104
	v_sub_f16_e32 v104, v104, v114
	v_sub_f16_e32 v113, v114, v113
	v_add_f16_e64 v114, v93, v186
	v_fmac_f16_e64 v185, v193, v96
	v_sub_f16_e64 v193, v199, v207
	v_sub_f16_e64 v112, v200, v112
	;; [unrolled: 1-line block ×5, first 2 shown]
	v_add_f16_e64 v114, v114, v189
	v_add_f16_e64 v189, v135, v11
	v_sub_f16_e64 v200, v135, v11
	v_sub_f16_e64 v135, v9, v135
	v_sub_f16_e32 v11, v11, v9
	v_mul_f16_e32 v104, 0x3a52, v104
	v_add_f16_e64 v9, v189, v9
	v_mul_f16_e64 v189, 0x3a52, v197
	v_mul_f16_e64 v197, 0x2b26, v112
	v_add_f16_e64 v188, v195, v185
	v_add_f16_e64 v194, v202, v204
	v_sub_f16_e64 v185, v195, v185
	v_fma_f16 v112, 0x2b26, v112, v189
	v_fma_f16 v197, v94, 0x39e0, -v197
	v_fma_f16 v94, v94, 0xb9e0, -v189
	v_mul_f16_e64 v189, 0x2b26, v113
	v_fmamk_f16 v113, v113, 0x2b26, v104
	v_fma_f16 v104, v198, 0xb9e0, -v104
	v_sub_f16_e64 v195, v204, v202
	v_add_f16_e64 v94, v94, v140
	v_fma_f16 v189, v198, 0x39e0, -v189
	v_mul_f16_e64 v198, 0xb846, v199
	v_mul_f16_e64 v199, 0x3b00, v186
	v_add_f16_e32 v104, v104, v115
	v_add_f16_e32 v113, v113, v115
	s_delay_alu instid0(VALU_DEP_4)
	v_fma_f16 v186, v186, 0x3b00, -v198
	v_fma_f16 v198, 0x3574, v93, v198
	v_fma_f16 v93, v93, 0xb574, -v199
	v_mul_f16_e64 v199, 0xb846, v200
	v_mul_f16_e64 v200, 0x3b00, v11
	v_fmac_f16_e64 v186, 0x370e, v114
	v_fmac_f16_e64 v198, 0x370e, v114
	v_fmac_f16_e32 v93, 0x370e, v114
	v_fma_f16 v11, v11, 0x3b00, -v199
	v_fma_f16 v199, 0x3574, v135, v199
	v_fma_f16 v135, v135, 0xb574, -v200
	v_add_f16_e64 v200, v190, v138
	s_delay_alu instid0(VALU_DEP_4) | instskip(NEXT) | instid1(VALU_DEP_4)
	v_fmac_f16_e32 v11, 0x370e, v9
	v_fmac_f16_e64 v199, 0x370e, v9
	s_delay_alu instid0(VALU_DEP_4) | instskip(SKIP_2) | instid1(VALU_DEP_2)
	v_fmac_f16_e64 v135, 0x370e, v9
	v_add_f16_e64 v9, v192, v188
	v_add_f16_e64 v200, v194, v200
	;; [unrolled: 1-line block ×3, first 2 shown]
	s_delay_alu instid0(VALU_DEP_2) | instskip(NEXT) | instid1(VALU_DEP_2)
	v_add_f16_e64 v8, v8, v200
	v_add_f16_e64 v114, v201, v9
	s_delay_alu instid0(VALU_DEP_2) | instskip(NEXT) | instid1(VALU_DEP_2)
	v_fma_f16 v141, 0xbcab, v200, v8
	v_fma_f16 v144, 0xbcab, v9, v114
	v_pack_b32_f16 v8, v8, v114
	v_add_f16_e64 v9, v112, v140
	v_add_f16_e64 v112, v197, v140
	;; [unrolled: 1-line block ×4, first 2 shown]
	v_sub_f16_e64 v94, v94, v135
	v_sub_f16_e64 v135, v104, v93
	v_add_f16_e32 v93, v93, v104
	v_sub_f16_e32 v115, v112, v11
	v_add_f16_e32 v11, v11, v112
	v_add_f16_e64 v112, v186, v114
	v_sub_f16_e64 v114, v114, v186
	v_add_f16_e64 v104, v199, v9
	v_sub_f16_e64 v9, v9, v199
	v_sub_f16_e64 v186, v113, v198
	v_add_f16_e64 v113, v198, v113
	v_pack_b32_f16 v93, v94, v93
	v_sub_f16_e64 v94, v138, v194
	v_pack_b32_f16 v135, v140, v135
	v_pack_b32_f16 v104, v104, v186
	;; [unrolled: 1-line block ×4, first 2 shown]
	v_sub_f16_e64 v113, v194, v190
	v_sub_f16_e64 v114, v188, v196
	v_add_f16_e64 v140, v195, v191
	v_sub_f16_e64 v186, v195, v191
	v_sub_f16_e64 v189, v187, v195
	;; [unrolled: 1-line block ×3, first 2 shown]
	v_mul_f16_e64 v197, 0x3a52, v94
	v_pack_b32_f16 v112, v115, v112
	v_sub_f16_e64 v115, v196, v192
	v_add_f16_e64 v194, v10, v193
	v_sub_f16_e64 v196, v185, v10
	v_mul_f16_e64 v186, 0xb846, v186
	v_mul_f16_e32 v114, 0x3a52, v114
	v_mul_f16_e64 v195, 0xb846, v195
	v_fma_f16 v10, 0x2b26, v113, v197
	v_add_f16_e64 v140, v140, v187
	v_add_f16_e64 v194, v194, v185
	v_fma_f16 v198, 0x3574, v189, v186
	v_fma_f16 v199, 0x3574, v196, v195
	v_add_f16_e64 v200, v10, v141
	v_fmamk_f16 v10, v115, 0x2b26, v114
	v_mul_f16_e32 v113, 0x2b26, v113
	v_fmac_f16_e64 v198, 0x370e, v140
	v_fmac_f16_e64 v199, 0x370e, v194
	v_mul_f16_e32 v115, 0x2b26, v115
	v_add_f16_e64 v201, v10, v144
	s_delay_alu instid0(VALU_DEP_3) | instskip(NEXT) | instid1(VALU_DEP_2)
	v_add_f16_e64 v10, v199, v200
	v_sub_f16_e64 v94, v201, v198
	s_delay_alu instid0(VALU_DEP_1)
	v_pack_b32_f16 v10, v10, v94
	ds_store_b32 v116, v112 offset:3168
	ds_store_b32 v116, v11 offset:4140
	;; [unrolled: 1-line block ×6, first 2 shown]
	ds_store_2addr_b32 v173, v104, v10 offset0:50 offset1:113
	v_subrev_nc_u32_e32 v8, 54, v156
	s_delay_alu instid0(VALU_DEP_1) | instskip(NEXT) | instid1(VALU_DEP_1)
	v_cndmask_b32_e32 v8, v8, v177, vcc_lo
	v_mul_i32_i24_e32 v9, 24, v8
	v_mul_hi_i32_i24_e32 v10, 24, v8
	s_delay_alu instid0(VALU_DEP_2) | instskip(SKIP_1) | instid1(VALU_DEP_2)
	v_add_co_u32 v8, s0, s10, v9
	s_wait_alu 0xf1ff
	v_add_co_ci_u32_e64 v9, s0, s11, v10, s0
	s_clause 0x1
	global_load_b64 v[93:94], v[8:9], off offset:976
	global_load_b128 v[8:11], v[8:9], off offset:960
	s_wait_loadcnt 0x0
	v_lshrrev_b32_e32 v112, 16, v9
	s_delay_alu instid0(VALU_DEP_1) | instskip(SKIP_2) | instid1(VALU_DEP_3)
	v_mul_f16_e64 v104, v179, v112
	v_mul_f16_e64 v173, v101, v112
	v_lshrrev_b32_e32 v112, 16, v10
	v_fma_f16 v104, v101, v9, -v104
	s_delay_alu instid0(VALU_DEP_3) | instskip(NEXT) | instid1(VALU_DEP_3)
	v_fmac_f16_e64 v173, v179, v9
	v_mul_f16_e64 v101, v182, v112
	v_mul_f16_e64 v202, v105, v112
	v_sub_f16_e64 v179, v193, v185
	v_sub_f16_e64 v112, v192, v188
	s_delay_alu instid0(VALU_DEP_4) | instskip(SKIP_2) | instid1(VALU_DEP_4)
	v_fma_f16 v177, v105, v10, -v101
	v_lshrrev_b32_e32 v105, 16, v11
	v_fmac_f16_e64 v202, v182, v10
	v_fma_f16 v115, v112, 0x39e0, -v115
	v_fma_f16 v112, v112, 0xb9e0, -v114
	v_sub_f16_e64 v182, v200, v199
	v_mul_f16_e64 v101, v181, v105
	v_mul_f16_e64 v204, v100, v105
	v_add_f16_e64 v115, v115, v144
	v_add_f16_e64 v112, v112, v144
	s_delay_alu instid0(VALU_DEP_4) | instskip(SKIP_2) | instid1(VALU_DEP_2)
	v_fma_f16 v203, v100, v11, -v101
	v_lshrrev_b32_e32 v101, 16, v93
	v_fmac_f16_e64 v204, v181, v11
	v_mul_f16_e64 v100, v180, v101
	s_delay_alu instid0(VALU_DEP_1) | instskip(SKIP_2) | instid1(VALU_DEP_2)
	v_fma_f16 v135, v99, v93, -v100
	v_mul_f16_e32 v99, v99, v101
	v_lshrrev_b32_e32 v101, 16, v94
	v_fmac_f16_e64 v99, v180, v93
	s_delay_alu instid0(VALU_DEP_2)
	v_mul_f16_e64 v100, v184, v101
	v_mul_f16_e64 v105, v183, v101
	v_sub_f16_e64 v101, v190, v138
	v_sub_f16_e64 v138, v191, v187
	v_fma_f16 v180, v179, 0x3b00, -v195
	v_mul_f16_e64 v179, 0x3b00, v179
	v_fma_f16 v100, v183, v94, -v100
	v_fma_f16 v113, v101, 0x39e0, -v113
	;; [unrolled: 1-line block ×4, first 2 shown]
	v_mul_f16_e64 v138, 0x3b00, v138
	v_fma_f16 v179, v196, 0xb574, -v179
	v_add_f16_e64 v113, v113, v141
	v_add_f16_e64 v101, v101, v141
	v_fmac_f16_e64 v180, 0x370e, v194
	v_fma_f16 v138, v189, 0xb574, -v138
	v_fmac_f16_e64 v179, 0x370e, v194
	v_fmac_f16_e64 v114, 0x370e, v140
	;; [unrolled: 1-line block ×3, first 2 shown]
	v_add_f16_e64 v183, v198, v201
	v_fmac_f16_e64 v138, 0x370e, v140
	v_sub_f16_e64 v140, v113, v180
	v_add_f16_e64 v113, v180, v113
	v_add_f16_e64 v180, v179, v101
	v_sub_f16_e64 v179, v101, v179
	v_lshrrev_b32_e32 v101, 16, v8
	v_add_f16_e64 v141, v114, v115
	v_sub_f16_e64 v144, v115, v114
	v_sub_f16_e64 v181, v112, v138
	v_add_f16_e64 v138, v138, v112
	v_mul_f16_e32 v115, v103, v101
	v_mul_f16_e64 v101, v178, v101
	v_pack_b32_f16 v140, v140, v141
	v_pack_b32_f16 v113, v113, v144
	;; [unrolled: 1-line block ×3, first 2 shown]
	v_fmac_f16_e64 v115, v178, v8
	v_fma_f16 v103, v103, v8, -v101
	v_pack_b32_f16 v141, v182, v183
	v_sub_f16_e64 v178, v204, v202
	s_delay_alu instid0(VALU_DEP_4) | instskip(NEXT) | instid1(VALU_DEP_4)
	v_add_f16_e32 v112, v115, v105
	v_add_f16_e32 v101, v103, v100
	v_sub_f16_e32 v114, v103, v100
	v_sub_f16_e32 v100, v115, v105
	v_add_f16_e64 v105, v104, v135
	v_sub_f16_e64 v135, v104, v135
	v_add_f16_e64 v115, v173, v99
	v_sub_f16_e64 v104, v173, v99
	v_add_f16_e64 v103, v177, v203
	v_add_f16_e32 v99, v105, v101
	v_sub_f16_e64 v173, v203, v177
	v_add_f16_e64 v177, v202, v204
	v_sub_f16_e64 v144, v100, v178
	v_sub_f16_e64 v186, v103, v105
	v_add_f16_e64 v189, v103, v99
	v_sub_f16_e64 v179, v178, v104
	v_sub_f16_e64 v187, v177, v115
	s_delay_alu instid0(VALU_DEP_3)
	v_add_f16_e64 v99, v102, v189
	v_pack_b32_f16 v102, v180, v181
	ds_store_b32 v116, v102 offset:2448
	ds_store_b32 v116, v140 offset:3420
	;; [unrolled: 1-line block ×5, first 2 shown]
	v_sub_f16_e32 v102, v101, v103
	v_add_f16_e32 v103, v115, v112
	v_sub_f16_e64 v113, v112, v177
	v_sub_f16_e64 v140, v114, v173
	v_add_f16_e64 v138, v173, v135
	v_mul_f16_e64 v182, 0x3a52, v102
	v_add_f16_e64 v103, v177, v103
	v_sub_f16_e64 v180, v173, v135
	v_add_f16_e64 v141, v178, v104
	v_mul_f16_e64 v183, 0x3a52, v113
	v_mul_f16_e64 v185, 0x3574, v140
	v_add_f16_e64 v134, v134, v103
	v_mul_f16_e64 v181, 0x3574, v144
	v_fma_f16 v177, 0xbcab, v189, v99
	v_fma_f16 v102, 0x2b26, v186, v182
	v_add_f16_e64 v188, v138, v114
	v_add_f16_e64 v184, v141, v100
	v_fma_f16 v178, 0xbcab, v103, v134
	v_fma_f16 v141, 0xb846, v179, v181
	v_add_f16_e64 v138, v102, v177
	v_fma_f16 v102, 0x2b26, v187, v183
	v_fma_f16 v173, 0xb846, v180, v185
	s_delay_alu instid0(VALU_DEP_4) | instskip(NEXT) | instid1(VALU_DEP_3)
	v_fmac_f16_e64 v141, 0x370e, v184
	v_add_f16_e64 v140, v102, v178
	s_delay_alu instid0(VALU_DEP_3) | instskip(NEXT) | instid1(VALU_DEP_3)
	v_fmac_f16_e64 v173, 0x370e, v188
	v_sub_f16_e64 v102, v138, v141
	s_delay_alu instid0(VALU_DEP_2)
	v_add_f16_e64 v103, v173, v140
	s_and_saveexec_b32 s0, vcc_lo
	s_cbranch_execz .LBB0_5
; %bb.4:
	v_mul_f16_e64 v144, 0x2b26, v187
	v_sub_f16_e64 v114, v135, v114
	v_sub_f16_e32 v112, v115, v112
	v_mul_f16_e64 v115, 0xb846, v180
	v_mul_f16_e64 v113, 0x2b26, v186
	v_sub_f16_e32 v101, v105, v101
	v_sub_f16_e32 v100, v104, v100
	v_mul_f16_e64 v104, 0xb846, v179
	v_mul_f16_e64 v186, 0x370e, v188
	v_fma_f16 v135, v114, 0xbb00, -v185
	v_fma_f16 v180, v112, 0xb9e0, -v183
	;; [unrolled: 1-line block ×4, first 2 shown]
	v_mul_f16_e64 v105, 0x370e, v184
	v_fma_f16 v182, v101, 0xb9e0, -v182
	v_fma_f16 v181, v100, 0xbb00, -v181
	;; [unrolled: 1-line block ×4, first 2 shown]
	v_add_f16_e64 v112, v112, v178
	v_add_f16_e64 v113, v186, v114
	;; [unrolled: 1-line block ×6, first 2 shown]
	v_add_f16_e32 v100, v105, v100
	v_add_f16_e64 v101, v101, v177
	v_sub_f16_e32 v115, v112, v113
	v_add_f16_e32 v112, v113, v112
	v_sub_f16_e64 v113, v140, v173
	v_add_f16_e64 v138, v141, v138
	v_add_f16_e64 v105, v135, v179
	v_sub_f16_e64 v114, v180, v104
	v_add_f16_e64 v144, v100, v101
	v_sub_f16_e64 v135, v179, v135
	v_add_f16_e64 v104, v104, v180
	v_sub_f16_e32 v100, v101, v100
	v_perm_b32 v99, v134, v99, 0x5040100
	v_pack_b32_f16 v101, v138, v113
	v_add_nc_u32_e32 v113, 0x2e0, v116
	v_pack_b32_f16 v104, v104, v135
	v_pack_b32_f16 v100, v100, v112
	v_add_nc_u32_e32 v112, 0xa80, v116
	v_pack_b32_f16 v115, v144, v115
	v_pack_b32_f16 v105, v114, v105
	v_add_nc_u32_e32 v114, 0x1200, v116
	v_perm_b32 v134, v103, v102, 0x5040100
	ds_store_2addr_b32 v113, v99, v101 offset0:5 offset1:248
	ds_store_2addr_b32 v112, v104, v100 offset0:3 offset1:246
	;; [unrolled: 1-line block ×3, first 2 shown]
	ds_store_b32 v116, v134 offset:6588
.LBB0_5:
	s_wait_alu 0xfffe
	s_or_b32 exec_lo, exec_lo, s0
	v_lshlrev_b32_e32 v99, 2, v156
	s_add_nc_u64 s[0:1], s[8:9], 0x1a94
	global_wb scope:SCOPE_SE
	s_wait_dscnt 0x0
	s_barrier_signal -1
	s_barrier_wait -1
	global_inv scope:SCOPE_SE
	s_clause 0x1
	global_load_b32 v100, v99, s[0:1] offset:6552
	global_load_b32 v112, v99, s[0:1] offset:6300
	ds_load_b32 v101, v116 offset:6552
	v_add_nc_u32_e32 v134, 0x1600, v116
	s_wait_dscnt 0x0
	v_lshrrev_b32_e32 v104, 16, v101
	s_wait_loadcnt 0x1
	v_lshrrev_b32_e32 v105, 16, v100
	s_delay_alu instid0(VALU_DEP_1) | instskip(SKIP_1) | instid1(VALU_DEP_2)
	v_mul_f16_e32 v113, v104, v105
	v_mul_f16_e32 v114, v101, v105
	v_fma_f16 v101, v101, v100, -v113
	s_delay_alu instid0(VALU_DEP_2)
	v_fmac_f16_e32 v114, v104, v100
	global_load_b32 v100, v[97:98], off offset:6804
	ds_load_2addr_b32 v[97:98], v116 offset1:63
	s_wait_dscnt 0x0
	v_lshrrev_b32_e32 v105, 16, v97
	s_wait_loadcnt 0x0
	v_lshrrev_b32_e32 v104, 16, v100
	s_delay_alu instid0(VALU_DEP_1) | instskip(NEXT) | instid1(VALU_DEP_3)
	v_mul_f16_e32 v113, v97, v104
	v_mul_f16_e32 v104, v105, v104
	s_delay_alu instid0(VALU_DEP_2) | instskip(NEXT) | instid1(VALU_DEP_2)
	v_fmac_f16_e32 v113, v105, v100
	v_fma_f16 v97, v97, v100, -v104
	s_delay_alu instid0(VALU_DEP_1)
	v_pack_b32_f16 v97, v97, v113
	ds_store_b32 v116, v97
	ds_load_2addr_b32 v[104:105], v134 offset0:104 offset1:167
	v_lshrrev_b32_e32 v97, 16, v112
	s_wait_dscnt 0x0
	v_lshrrev_b32_e32 v100, 16, v105
	s_delay_alu instid0(VALU_DEP_2) | instskip(NEXT) | instid1(VALU_DEP_2)
	v_mul_f16_e32 v113, v105, v97
	v_mul_f16_e32 v97, v100, v97
	s_delay_alu instid0(VALU_DEP_2) | instskip(SKIP_2) | instid1(VALU_DEP_4)
	v_fmac_f16_e32 v113, v100, v112
	v_pack_b32_f16 v100, v101, v114
	v_add_nc_u32_e32 v101, 0x1800, v116
	v_fma_f16 v97, v105, v112, -v97
	s_delay_alu instid0(VALU_DEP_1)
	v_pack_b32_f16 v97, v97, v113
	ds_store_2addr_b32 v101, v97, v100 offset0:39 offset1:102
	s_clause 0x7
	global_load_b32 v97, v99, s[0:1] offset:252
	global_load_b32 v105, v99, s[0:1] offset:504
	;; [unrolled: 1-line block ×8, first 2 shown]
	v_lshrrev_b32_e32 v100, 16, v98
	s_wait_loadcnt 0x7
	v_lshrrev_b32_e32 v101, 16, v97
	s_delay_alu instid0(VALU_DEP_1) | instskip(SKIP_1) | instid1(VALU_DEP_2)
	v_mul_f16_e32 v115, v100, v101
	v_mul_f16_e64 v141, v98, v101
	v_fma_f16 v144, v98, v97, -v115
	s_delay_alu instid0(VALU_DEP_2)
	v_fmac_f16_e64 v141, v100, v97
	s_clause 0x1
	global_load_b32 v97, v99, s[0:1] offset:4536
	global_load_b32 v115, v99, s[0:1] offset:4788
	v_add_nc_u32_e32 v98, 0x1000, v116
	s_clause 0x5
	global_load_b32 v173, v99, s[0:1] offset:5040
	global_load_b32 v178, v99, s[0:1] offset:5292
	;; [unrolled: 1-line block ×6, first 2 shown]
	v_pack_b32_f16 v141, v144, v141
	ds_load_2addr_b32 v[100:101], v98 offset0:110 offset1:173
	s_wait_dscnt 0x0
	v_lshrrev_b32_e32 v179, 16, v100
	s_wait_loadcnt 0x7
	v_lshrrev_b32_e32 v177, 16, v97
	s_delay_alu instid0(VALU_DEP_1) | instskip(NEXT) | instid1(VALU_DEP_3)
	v_mul_f16_e64 v184, v100, v177
	v_mul_f16_e64 v177, v179, v177
	s_delay_alu instid0(VALU_DEP_2) | instskip(NEXT) | instid1(VALU_DEP_2)
	v_fmac_f16_e64 v184, v179, v97
	v_fma_f16 v185, v100, v97, -v177
	s_wait_loadcnt 0x6
	v_lshrrev_b32_e32 v97, 16, v115
	v_lshrrev_b32_e32 v100, 16, v101
	s_delay_alu instid0(VALU_DEP_2) | instskip(NEXT) | instid1(VALU_DEP_2)
	v_mul_f16_e64 v186, v101, v97
	v_mul_f16_e64 v177, v100, v97
	s_delay_alu instid0(VALU_DEP_2) | instskip(NEXT) | instid1(VALU_DEP_2)
	v_fmac_f16_e64 v186, v100, v115
	v_fma_f16 v187, v101, v115, -v177
	s_clause 0x7
	global_load_b32 v97, v99, s[0:1] offset:2520
	global_load_b32 v115, v99, s[0:1] offset:2772
	;; [unrolled: 1-line block ×8, first 2 shown]
	v_add_nc_u32_e32 v101, 0x800, v116
	ds_load_2addr_b32 v[99:100], v101 offset0:118 offset1:181
	s_wait_dscnt 0x0
	v_lshrrev_b32_e32 v179, 16, v99
	s_wait_loadcnt 0x7
	v_lshrrev_b32_e32 v177, 16, v97
	s_delay_alu instid0(VALU_DEP_1) | instskip(NEXT) | instid1(VALU_DEP_3)
	v_mul_f16_e64 v194, v99, v177
	v_mul_f16_e64 v177, v179, v177
	s_delay_alu instid0(VALU_DEP_2) | instskip(NEXT) | instid1(VALU_DEP_2)
	v_fmac_f16_e64 v194, v179, v97
	v_fma_f16 v195, v99, v97, -v177
	s_wait_loadcnt 0x6
	v_lshrrev_b32_e32 v97, 16, v115
	v_lshrrev_b32_e32 v99, 16, v100
	v_add_nc_u32_e32 v179, 0xa00, v116
	s_delay_alu instid0(VALU_DEP_3) | instskip(NEXT) | instid1(VALU_DEP_3)
	v_mul_f16_e64 v196, v100, v97
	v_mul_f16_e64 v177, v99, v97
	v_lshrrev_b32_e32 v97, 16, v105
	s_delay_alu instid0(VALU_DEP_3) | instskip(NEXT) | instid1(VALU_DEP_3)
	v_fmac_f16_e64 v196, v99, v115
	v_fma_f16 v197, v100, v115, -v177
	ds_load_2addr_b32 v[99:100], v116 offset0:126 offset1:189
	v_add_nc_u32_e32 v177, 0x1200, v116
	s_wait_dscnt 0x0
	v_lshrrev_b32_e32 v115, 16, v99
	v_mul_f16_e64 v198, v99, v97
	s_delay_alu instid0(VALU_DEP_2) | instskip(NEXT) | instid1(VALU_DEP_2)
	v_mul_f16_e32 v97, v115, v97
	v_fmac_f16_e64 v198, v115, v105
	s_delay_alu instid0(VALU_DEP_2) | instskip(SKIP_2) | instid1(VALU_DEP_3)
	v_fma_f16 v199, v99, v105, -v97
	v_lshrrev_b32_e32 v97, 16, v112
	v_lshrrev_b32_e32 v99, 16, v100
	v_pack_b32_f16 v144, v199, v198
	s_delay_alu instid0(VALU_DEP_3) | instskip(NEXT) | instid1(VALU_DEP_3)
	v_mul_f16_e64 v200, v100, v97
	v_mul_f16_e32 v105, v99, v97
	v_lshrrev_b32_e32 v97, 16, v173
	ds_store_2addr_b32 v116, v141, v144 offset0:63 offset1:126
	v_fmac_f16_e64 v200, v99, v112
	v_fma_f16 v201, v100, v112, -v105
	ds_load_2addr_b32 v[99:100], v177 offset0:108 offset1:171
	v_pack_b32_f16 v141, v187, v186
	s_wait_dscnt 0x0
	v_lshrrev_b32_e32 v105, 16, v99
	v_mul_f16_e32 v112, v99, v97
	s_delay_alu instid0(VALU_DEP_2) | instskip(NEXT) | instid1(VALU_DEP_2)
	v_mul_f16_e32 v97, v105, v97
	v_fmac_f16_e64 v112, v105, v173
	s_delay_alu instid0(VALU_DEP_2) | instskip(SKIP_2) | instid1(VALU_DEP_3)
	v_fma_f16 v202, v99, v173, -v97
	v_lshrrev_b32_e32 v97, 16, v178
	v_lshrrev_b32_e32 v99, 16, v100
	v_pack_b32_f16 v112, v202, v112
	s_delay_alu instid0(VALU_DEP_3) | instskip(NEXT) | instid1(VALU_DEP_3)
	v_mul_f16_e64 v203, v100, v97
	v_mul_f16_e32 v105, v99, v97
	s_wait_loadcnt 0x5
	v_lshrrev_b32_e32 v97, 16, v188
	ds_store_2addr_b32 v98, v141, v112 offset0:173 offset1:236
	v_fmac_f16_e64 v203, v99, v178
	v_fma_f16 v204, v100, v178, -v105
	ds_load_2addr_b32 v[99:100], v179 offset0:116 offset1:179
	v_add_nc_u32_e32 v178, 0x200, v116
	v_pack_b32_f16 v112, v197, v196
	s_wait_dscnt 0x0
	v_lshrrev_b32_e32 v105, 16, v99
	v_mul_f16_e64 v205, v99, v97
	s_delay_alu instid0(VALU_DEP_2) | instskip(NEXT) | instid1(VALU_DEP_2)
	v_mul_f16_e32 v97, v105, v97
	v_fmac_f16_e64 v205, v105, v188
	s_delay_alu instid0(VALU_DEP_2) | instskip(SKIP_3) | instid1(VALU_DEP_3)
	v_fma_f16 v188, v99, v188, -v97
	s_wait_loadcnt 0x4
	v_lshrrev_b32_e32 v97, 16, v189
	v_lshrrev_b32_e32 v99, 16, v100
	v_pack_b32_f16 v141, v188, v205
	s_delay_alu instid0(VALU_DEP_3) | instskip(NEXT) | instid1(VALU_DEP_3)
	v_mul_f16_e64 v206, v100, v97
	v_mul_f16_e32 v105, v99, v97
	v_lshrrev_b32_e32 v97, 16, v113
	ds_store_2addr_b32 v101, v112, v141 offset0:181 offset1:244
	v_fmac_f16_e64 v206, v99, v189
	v_fma_f16 v207, v100, v189, -v105
	ds_load_2addr_b32 v[99:100], v178 offset0:124 offset1:187
	v_pack_b32_f16 v112, v201, v200
	s_wait_dscnt 0x0
	v_lshrrev_b32_e32 v105, 16, v99
	v_mul_f16_e64 v189, v99, v97
	s_delay_alu instid0(VALU_DEP_2) | instskip(NEXT) | instid1(VALU_DEP_2)
	v_mul_f16_e32 v97, v105, v97
	v_fmac_f16_e64 v189, v105, v113
	s_delay_alu instid0(VALU_DEP_2) | instskip(SKIP_2) | instid1(VALU_DEP_3)
	v_fma_f16 v113, v99, v113, -v97
	v_lshrrev_b32_e32 v97, 16, v114
	v_lshrrev_b32_e32 v99, 16, v100
	v_pack_b32_f16 v113, v113, v189
	s_delay_alu instid0(VALU_DEP_3) | instskip(NEXT) | instid1(VALU_DEP_3)
	v_mul_f16_e64 v208, v100, v97
	v_mul_f16_e32 v105, v99, v97
	v_lshrrev_b32_e32 v97, 16, v180
	ds_store_2addr_b32 v116, v112, v113 offset0:189 offset1:252
	v_fmac_f16_e64 v208, v99, v114
	v_fma_f16 v209, v100, v114, -v105
	v_add_nc_u32_e32 v105, 0x1400, v116
	v_pack_b32_f16 v112, v204, v203
	ds_load_2addr_b32 v[99:100], v105 offset0:106 offset1:169
	s_wait_dscnt 0x0
	v_lshrrev_b32_e32 v114, 16, v99
	v_mul_f16_e64 v210, v99, v97
	s_delay_alu instid0(VALU_DEP_2) | instskip(NEXT) | instid1(VALU_DEP_2)
	v_mul_f16_e32 v97, v114, v97
	v_fmac_f16_e64 v210, v114, v180
	s_delay_alu instid0(VALU_DEP_2) | instskip(SKIP_2) | instid1(VALU_DEP_3)
	v_fma_f16 v180, v99, v180, -v97
	v_lshrrev_b32_e32 v97, 16, v181
	v_lshrrev_b32_e32 v99, 16, v100
	v_pack_b32_f16 v113, v180, v210
	s_delay_alu instid0(VALU_DEP_3) | instskip(NEXT) | instid1(VALU_DEP_3)
	v_mul_f16_e64 v211, v100, v97
	v_mul_f16_e32 v114, v99, v97
	s_wait_loadcnt 0x3
	v_lshrrev_b32_e32 v97, 16, v190
	ds_store_2addr_b32 v105, v112, v113 offset0:43 offset1:106
	v_fmac_f16_e64 v211, v99, v181
	v_fma_f16 v212, v100, v181, -v114
	v_add_nc_u32_e32 v100, 0xc00, v116
	v_pack_b32_f16 v112, v207, v206
	ds_load_2addr_b32 v[114:115], v100 offset0:114 offset1:177
	s_wait_dscnt 0x0
	v_lshrrev_b32_e32 v99, 16, v114
	v_mul_f16_e64 v181, v114, v97
	s_delay_alu instid0(VALU_DEP_2) | instskip(NEXT) | instid1(VALU_DEP_2)
	v_mul_f16_e32 v97, v99, v97
	v_fmac_f16_e64 v181, v99, v190
	v_lshrrev_b32_e32 v99, 16, v115
	s_delay_alu instid0(VALU_DEP_3) | instskip(SKIP_2) | instid1(VALU_DEP_2)
	v_fma_f16 v190, v114, v190, -v97
	s_wait_loadcnt 0x2
	v_lshrrev_b32_e32 v97, 16, v191
	v_pack_b32_f16 v113, v190, v181
	s_delay_alu instid0(VALU_DEP_2)
	v_mul_f16_e32 v114, v99, v97
	v_mul_f16_e64 v213, v115, v97
	v_add_nc_u32_e32 v97, 0x400, v116
	ds_store_2addr_b32 v100, v112, v113 offset0:51 offset1:114
	v_fma_f16 v146, v115, v191, -v114
	v_fmac_f16_e64 v213, v99, v191
	ds_load_2addr_b32 v[114:115], v97 offset0:122 offset1:185
	v_lshrrev_b32_e32 v99, 16, v135
	v_pack_b32_f16 v112, v209, v208
	s_wait_dscnt 0x0
	v_lshrrev_b32_e32 v173, 16, v114
	s_delay_alu instid0(VALU_DEP_3) | instskip(NEXT) | instid1(VALU_DEP_2)
	v_mul_f16_e64 v191, v114, v99
	v_mul_f16_e64 v99, v173, v99
	s_delay_alu instid0(VALU_DEP_2) | instskip(NEXT) | instid1(VALU_DEP_2)
	v_fmac_f16_e64 v191, v173, v135
	v_fma_f16 v135, v114, v135, -v99
	v_lshrrev_b32_e32 v99, 16, v138
	v_lshrrev_b32_e32 v114, 16, v115
	s_delay_alu instid0(VALU_DEP_3) | instskip(NEXT) | instid1(VALU_DEP_3)
	v_pack_b32_f16 v113, v135, v191
	v_mul_f16_e64 v214, v115, v99
	s_delay_alu instid0(VALU_DEP_3)
	v_mul_f16_e64 v173, v114, v99
	v_lshrrev_b32_e32 v99, 16, v182
	ds_store_2addr_b32 v97, v112, v113 offset0:59 offset1:122
	v_fmac_f16_e64 v214, v114, v138
	v_lshrrev_b32_e32 v114, 16, v104
	v_fma_f16 v215, v115, v138, -v173
	v_mul_f16_e64 v138, v104, v99
	s_wait_loadcnt 0x0
	v_lshrrev_b32_e32 v173, 16, v193
	v_pack_b32_f16 v112, v212, v211
	v_mul_f16_e32 v115, v114, v99
	v_add_nc_u32_e32 v99, 0x600, v116
	v_fmac_f16_e64 v138, v114, v182
	s_delay_alu instid0(VALU_DEP_3)
	v_fma_f16 v104, v104, v182, -v115
	ds_load_2addr_b32 v[114:115], v99 offset0:120 offset1:183
	v_pack_b32_f16 v104, v104, v138
	ds_store_2addr_b32 v105, v112, v104 offset0:169 offset1:232
	v_pack_b32_f16 v104, v146, v213
	s_wait_dscnt 0x1
	v_lshrrev_b32_e32 v182, 16, v115
	v_mul_f16_e64 v216, v115, v173
	s_delay_alu instid0(VALU_DEP_2) | instskip(NEXT) | instid1(VALU_DEP_2)
	v_mul_f16_e64 v173, v182, v173
	v_fmac_f16_e64 v216, v182, v193
	s_delay_alu instid0(VALU_DEP_2) | instskip(SKIP_2) | instid1(VALU_DEP_3)
	v_fma_f16 v182, v115, v193, -v173
	v_lshrrev_b32_e32 v115, 16, v140
	v_lshrrev_b32_e32 v173, 16, v114
	v_pack_b32_f16 v182, v182, v216
	s_delay_alu instid0(VALU_DEP_3) | instskip(NEXT) | instid1(VALU_DEP_3)
	v_mul_f16_e64 v217, v114, v115
	v_mul_f16_e64 v193, v173, v115
	s_delay_alu instid0(VALU_DEP_2) | instskip(SKIP_1) | instid1(VALU_DEP_3)
	v_fmac_f16_e64 v217, v173, v140
	v_add_nc_u32_e32 v173, 0xe00, v116
	v_fma_f16 v193, v114, v140, -v193
	v_lshrrev_b32_e32 v140, 16, v192
	ds_load_2addr_b32 v[114:115], v173 offset0:112 offset1:175
	s_wait_dscnt 0x0
	v_lshrrev_b32_e32 v218, 16, v114
	v_mul_f16_e64 v147, v114, v140
	s_delay_alu instid0(VALU_DEP_2) | instskip(NEXT) | instid1(VALU_DEP_2)
	v_mul_f16_e64 v140, v218, v140
	v_fmac_f16_e64 v147, v218, v192
	s_delay_alu instid0(VALU_DEP_2) | instskip(SKIP_2) | instid1(VALU_DEP_3)
	v_fma_f16 v114, v114, v192, -v140
	v_lshrrev_b32_e32 v140, 16, v183
	v_lshrrev_b32_e32 v192, 16, v115
	v_pack_b32_f16 v112, v114, v147
	s_delay_alu instid0(VALU_DEP_2)
	v_mul_f16_e64 v218, v192, v140
	v_mul_f16_e64 v140, v115, v140
	ds_store_2addr_b32 v100, v104, v112 offset0:177 offset1:240
	v_pack_b32_f16 v104, v215, v214
	v_fma_f16 v115, v115, v183, -v218
	v_fmac_f16_e64 v140, v192, v183
	v_pack_b32_f16 v112, v193, v217
	v_pack_b32_f16 v183, v195, v194
	ds_store_2addr_b32 v97, v104, v112 offset0:185 offset1:248
	v_pack_b32_f16 v104, v185, v184
	v_pack_b32_f16 v112, v115, v140
	ds_store_2addr_b32 v101, v182, v183 offset0:55 offset1:118
	ds_store_2addr_b32 v98, v112, v104 offset0:47 offset1:110
	global_wb scope:SCOPE_SE
	s_wait_dscnt 0x0
	s_barrier_signal -1
	s_barrier_wait -1
	global_inv scope:SCOPE_SE
	ds_load_2addr_b32 v[114:115], v98 offset0:110 offset1:173
	ds_load_2addr_b32 v[140:141], v99 offset0:120 offset1:183
	ds_load_2addr_b32 v[180:181], v116 offset1:63
	s_wait_dscnt 0x1
	v_pk_add_f16 v104, v141, v114
	v_pk_add_f16 v112, v141, v114 neg_lo:[0,1] neg_hi:[0,1]
	s_wait_dscnt 0x0
	s_delay_alu instid0(VALU_DEP_2) | instskip(NEXT) | instid1(VALU_DEP_2)
	v_pk_fma_f16 v104, v104, 0.5, v180 op_sel_hi:[1,0,1] neg_lo:[1,0,0] neg_hi:[1,0,0]
	v_pk_mul_f16 v112, 0x3aee, v112 op_sel_hi:[0,1]
	s_delay_alu instid0(VALU_DEP_1) | instskip(SKIP_2) | instid1(VALU_DEP_2)
	v_pk_add_f16 v113, v104, v112 op_sel:[0,1] op_sel_hi:[1,0] neg_lo:[0,1] neg_hi:[0,1]
	v_pk_add_f16 v104, v104, v112 op_sel:[0,1] op_sel_hi:[1,0]
	v_pk_add_f16 v112, v180, v141
	v_bfi_b32 v135, 0xffff, v113, v104
	v_bfi_b32 v104, 0xffff, v104, v113
	s_delay_alu instid0(VALU_DEP_3)
	v_pk_add_f16 v114, v112, v114
	ds_load_b32 v138, v116 offset:6552
	ds_load_2addr_b32 v[182:183], v101 offset0:118 offset1:181
	ds_load_2addr_b32 v[184:185], v116 offset0:126 offset1:189
	;; [unrolled: 1-line block ×10, first 2 shown]
	global_wb scope:SCOPE_SE
	s_wait_dscnt 0x0
	s_barrier_signal -1
	s_barrier_wait -1
	global_inv scope:SCOPE_SE
	scratch_load_b32 v141, off, off offset:136 th:TH_LOAD_LU ; 4-byte Folded Reload
	s_wait_loadcnt 0x0
	ds_store_2addr_b32 v141, v114, v135 offset1:1
	ds_store_b32 v141, v104 offset:8
	v_pk_add_f16 v114, v181, v182
	v_pk_add_f16 v104, v182, v115
	s_delay_alu instid0(VALU_DEP_2) | instskip(SKIP_1) | instid1(VALU_DEP_3)
	v_pk_add_f16 v114, v114, v115
	v_pk_add_f16 v115, v182, v115 neg_lo:[0,1] neg_hi:[0,1]
	v_pk_fma_f16 v104, v104, 0.5, v181 op_sel_hi:[1,0,1] neg_lo:[1,0,0] neg_hi:[1,0,0]
	s_delay_alu instid0(VALU_DEP_2) | instskip(NEXT) | instid1(VALU_DEP_1)
	v_pk_mul_f16 v115, 0x3aee, v115 op_sel_hi:[0,1]
	v_pk_add_f16 v135, v104, v115 op_sel:[0,1] op_sel_hi:[1,0] neg_lo:[0,1] neg_hi:[0,1]
	v_pk_add_f16 v104, v104, v115 op_sel:[0,1] op_sel_hi:[1,0]
	s_delay_alu instid0(VALU_DEP_1)
	v_bfi_b32 v115, 0xffff, v135, v104
	v_bfi_b32 v104, 0xffff, v104, v135
	ds_store_2addr_b32 v169, v114, v115 offset1:1
	ds_store_b32 v169, v104 offset:8
	v_pk_add_f16 v104, v183, v186
	v_pk_add_f16 v114, v183, v186 neg_lo:[0,1] neg_hi:[0,1]
	s_delay_alu instid0(VALU_DEP_2) | instskip(NEXT) | instid1(VALU_DEP_2)
	v_pk_fma_f16 v104, v104, 0.5, v184 op_sel_hi:[1,0,1] neg_lo:[1,0,0] neg_hi:[1,0,0]
	v_pk_mul_f16 v114, 0x3aee, v114 op_sel_hi:[0,1]
	s_delay_alu instid0(VALU_DEP_1) | instskip(SKIP_2) | instid1(VALU_DEP_2)
	v_pk_add_f16 v115, v104, v114 op_sel:[0,1] op_sel_hi:[1,0] neg_lo:[0,1] neg_hi:[0,1]
	v_pk_add_f16 v104, v104, v114 op_sel:[0,1] op_sel_hi:[1,0]
	v_pk_add_f16 v114, v184, v183
	v_bfi_b32 v135, 0xffff, v115, v104
	s_delay_alu instid0(VALU_DEP_2)
	v_pk_add_f16 v114, v114, v186
	v_bfi_b32 v104, 0xffff, v104, v115
	ds_store_2addr_b32 v167, v114, v135 offset1:1
	ds_store_b32 v167, v104 offset:8
	v_pk_add_f16 v104, v188, v187
	v_pk_add_f16 v115, v188, v187 neg_lo:[0,1] neg_hi:[0,1]
	v_pk_add_f16 v114, v185, v188
	s_delay_alu instid0(VALU_DEP_3) | instskip(NEXT) | instid1(VALU_DEP_3)
	v_pk_fma_f16 v104, v104, 0.5, v185 op_sel_hi:[1,0,1] neg_lo:[1,0,0] neg_hi:[1,0,0]
	v_pk_mul_f16 v115, 0x3aee, v115 op_sel_hi:[0,1]
	s_delay_alu instid0(VALU_DEP_3) | instskip(NEXT) | instid1(VALU_DEP_2)
	v_pk_add_f16 v114, v114, v187
	v_pk_add_f16 v135, v104, v115 op_sel:[0,1] op_sel_hi:[1,0] neg_lo:[0,1] neg_hi:[0,1]
	v_pk_add_f16 v104, v104, v115 op_sel:[0,1] op_sel_hi:[1,0]
	s_delay_alu instid0(VALU_DEP_1)
	v_bfi_b32 v115, 0xffff, v135, v104
	v_bfi_b32 v104, 0xffff, v104, v135
	ds_store_2addr_b32 v171, v114, v115 offset1:1
	ds_store_b32 v171, v104 offset:8
	v_pk_add_f16 v104, v189, v192
	v_pk_add_f16 v114, v189, v192 neg_lo:[0,1] neg_hi:[0,1]
	s_delay_alu instid0(VALU_DEP_2) | instskip(NEXT) | instid1(VALU_DEP_2)
	v_pk_fma_f16 v104, v104, 0.5, v190 op_sel_hi:[1,0,1] neg_lo:[1,0,0] neg_hi:[1,0,0]
	v_pk_mul_f16 v114, 0x3aee, v114 op_sel_hi:[0,1]
	s_delay_alu instid0(VALU_DEP_1) | instskip(SKIP_2) | instid1(VALU_DEP_2)
	v_pk_add_f16 v115, v104, v114 op_sel:[0,1] op_sel_hi:[1,0] neg_lo:[0,1] neg_hi:[0,1]
	v_pk_add_f16 v104, v104, v114 op_sel:[0,1] op_sel_hi:[1,0]
	v_pk_add_f16 v114, v190, v189
	v_bfi_b32 v135, 0xffff, v115, v104
	s_delay_alu instid0(VALU_DEP_2)
	v_pk_add_f16 v114, v114, v192
	v_bfi_b32 v104, 0xffff, v104, v115
	ds_store_2addr_b32 v168, v114, v135 offset1:1
	ds_store_b32 v168, v104 offset:8
	v_pk_add_f16 v104, v194, v193
	v_pk_add_f16 v115, v194, v193 neg_lo:[0,1] neg_hi:[0,1]
	v_pk_add_f16 v114, v191, v194
	s_delay_alu instid0(VALU_DEP_3) | instskip(NEXT) | instid1(VALU_DEP_3)
	v_pk_fma_f16 v104, v104, 0.5, v191 op_sel_hi:[1,0,1] neg_lo:[1,0,0] neg_hi:[1,0,0]
	v_pk_mul_f16 v115, 0x3aee, v115 op_sel_hi:[0,1]
	s_delay_alu instid0(VALU_DEP_3) | instskip(NEXT) | instid1(VALU_DEP_2)
	v_pk_add_f16 v114, v114, v193
	v_pk_add_f16 v135, v104, v115 op_sel:[0,1] op_sel_hi:[1,0] neg_lo:[0,1] neg_hi:[0,1]
	v_pk_add_f16 v104, v104, v115 op_sel:[0,1] op_sel_hi:[1,0]
	s_delay_alu instid0(VALU_DEP_1)
	v_bfi_b32 v115, 0xffff, v135, v104
	v_bfi_b32 v104, 0xffff, v104, v135
	ds_store_2addr_b32 v172, v114, v115 offset1:1
	ds_store_b32 v172, v104 offset:8
	v_pk_add_f16 v104, v195, v198
	v_pk_add_f16 v114, v195, v198 neg_lo:[0,1] neg_hi:[0,1]
	s_delay_alu instid0(VALU_DEP_2) | instskip(NEXT) | instid1(VALU_DEP_2)
	v_pk_fma_f16 v104, v104, 0.5, v196 op_sel_hi:[1,0,1] neg_lo:[1,0,0] neg_hi:[1,0,0]
	v_pk_mul_f16 v114, 0x3aee, v114 op_sel_hi:[0,1]
	s_delay_alu instid0(VALU_DEP_1) | instskip(SKIP_2) | instid1(VALU_DEP_2)
	v_pk_add_f16 v115, v104, v114 op_sel:[0,1] op_sel_hi:[1,0] neg_lo:[0,1] neg_hi:[0,1]
	v_pk_add_f16 v104, v104, v114 op_sel:[0,1] op_sel_hi:[1,0]
	v_pk_add_f16 v114, v196, v195
	v_bfi_b32 v135, 0xffff, v115, v104
	s_delay_alu instid0(VALU_DEP_2)
	v_pk_add_f16 v114, v114, v198
	v_bfi_b32 v104, 0xffff, v104, v115
	ds_store_2addr_b32 v170, v114, v135 offset1:1
	ds_store_b32 v170, v104 offset:8
	v_pk_add_f16 v104, v112, v199
	v_pk_add_f16 v114, v197, v112
	v_pk_add_f16 v112, v112, v199 neg_lo:[0,1] neg_hi:[0,1]
	s_delay_alu instid0(VALU_DEP_3) | instskip(NEXT) | instid1(VALU_DEP_3)
	v_pk_fma_f16 v104, v104, 0.5, v197 op_sel_hi:[1,0,1] neg_lo:[1,0,0] neg_hi:[1,0,0]
	v_pk_add_f16 v114, v114, v199
	s_delay_alu instid0(VALU_DEP_3) | instskip(NEXT) | instid1(VALU_DEP_1)
	v_pk_mul_f16 v112, 0x3aee, v112 op_sel_hi:[0,1]
	v_pk_add_f16 v115, v104, v112 op_sel:[0,1] op_sel_hi:[1,0] neg_lo:[0,1] neg_hi:[0,1]
	v_pk_add_f16 v104, v104, v112 op_sel:[0,1] op_sel_hi:[1,0]
	s_delay_alu instid0(VALU_DEP_1)
	v_bfi_b32 v112, 0xffff, v115, v104
	v_bfi_b32 v104, 0xffff, v104, v115
	ds_store_2addr_b32 v117, v114, v112 offset1:1
	ds_store_b32 v117, v104 offset:8
	v_pk_add_f16 v104, v113, v138
	v_pk_add_f16 v112, v140, v113
	v_pk_add_f16 v113, v113, v138 neg_lo:[0,1] neg_hi:[0,1]
	s_delay_alu instid0(VALU_DEP_3) | instskip(NEXT) | instid1(VALU_DEP_3)
	v_pk_fma_f16 v104, v104, 0.5, v140 op_sel_hi:[1,0,1] neg_lo:[1,0,0] neg_hi:[1,0,0]
	v_pk_add_f16 v112, v112, v138
	s_delay_alu instid0(VALU_DEP_3) | instskip(NEXT) | instid1(VALU_DEP_1)
	v_pk_mul_f16 v113, 0x3aee, v113 op_sel_hi:[0,1]
	v_pk_add_f16 v114, v104, v113 op_sel:[0,1] op_sel_hi:[1,0] neg_lo:[0,1] neg_hi:[0,1]
	v_pk_add_f16 v104, v104, v113 op_sel:[0,1] op_sel_hi:[1,0]
	s_delay_alu instid0(VALU_DEP_1)
	v_bfi_b32 v113, 0xffff, v114, v104
	v_bfi_b32 v104, 0xffff, v104, v114
	ds_store_2addr_b32 v120, v112, v113 offset1:1
	ds_store_b32 v120, v104 offset:8
	global_wb scope:SCOPE_SE
	s_wait_dscnt 0x0
	s_barrier_signal -1
	s_barrier_wait -1
	global_inv scope:SCOPE_SE
	ds_load_2addr_b32 v[140:141], v173 offset0:112 offset1:175
	s_wait_dscnt 0x0
	v_lshrrev_b32_e32 v104, 16, v141
	v_mul_f16_e64 v113, v176, v141
	s_delay_alu instid0(VALU_DEP_2) | instskip(NEXT) | instid1(VALU_DEP_2)
	v_mul_f16_e64 v112, v176, v104
	v_fma_f16 v115, v91, v104, -v113
	ds_load_b32 v113, v116 offset:6552
	v_fmac_f16_e64 v112, v91, v141
	v_lshrrev_b32_e32 v91, 16, v140
	s_wait_dscnt 0x0
	v_lshrrev_b32_e32 v114, 16, v113
	v_mul_f16_e64 v117, v175, v113
	s_delay_alu instid0(VALU_DEP_2) | instskip(NEXT) | instid1(VALU_DEP_2)
	v_mul_f16_e64 v104, v175, v114
	v_fma_f16 v114, v92, v114, -v117
	s_delay_alu instid0(VALU_DEP_2) | instskip(SKIP_2) | instid1(VALU_DEP_2)
	v_fmac_f16_e32 v104, v92, v113
	v_mul_f16_e64 v92, v129, v91
	v_mul_f16_e64 v113, v129, v140
	v_fmac_f16_e64 v92, v89, v140
	ds_load_2addr_b32 v[140:141], v134 offset0:104 offset1:167
	v_fma_f16 v113, v89, v91, -v113
	s_wait_dscnt 0x0
	v_lshrrev_b32_e32 v91, 16, v141
	v_mul_f16_e64 v117, v128, v141
	v_mul_f16_e64 v120, v174, v140
	s_delay_alu instid0(VALU_DEP_3) | instskip(SKIP_4) | instid1(VALU_DEP_1)
	v_mul_f16_e64 v89, v128, v91
	ds_load_2addr_b32 v[128:129], v100 offset0:114 offset1:177
	v_fma_f16 v91, v90, v91, -v117
	v_fmac_f16_e64 v89, v90, v141
	v_lshrrev_b32_e32 v90, 16, v140
	v_mul_f16_e64 v117, v174, v90
	v_fma_f16 v90, v88, v90, -v120
	s_delay_alu instid0(VALU_DEP_2) | instskip(SKIP_4) | instid1(VALU_DEP_3)
	v_fmac_f16_e64 v117, v88, v140
	s_wait_dscnt 0x0
	v_lshrrev_b32_e32 v135, 16, v129
	v_mul_f16_e64 v138, v126, v129
	v_mul_f16_e64 v88, v125, v128
	;; [unrolled: 1-line block ×3, first 2 shown]
	s_delay_alu instid0(VALU_DEP_3) | instskip(NEXT) | instid1(VALU_DEP_2)
	v_fma_f16 v135, v87, v135, -v138
	v_fmac_f16_e64 v126, v87, v129
	v_lshrrev_b32_e32 v87, 16, v128
	s_delay_alu instid0(VALU_DEP_1)
	v_mul_f16_e32 v120, v125, v87
	v_fma_f16 v125, v85, v87, -v88
	ds_load_2addr_b32 v[87:88], v105 offset0:106 offset1:169
	v_fmac_f16_e64 v120, v85, v128
	s_wait_dscnt 0x0
	v_lshrrev_b32_e32 v85, 16, v88
	v_mul_f16_e64 v128, v122, v88
	s_delay_alu instid0(VALU_DEP_2) | instskip(NEXT) | instid1(VALU_DEP_2)
	v_mul_f16_e32 v122, v122, v85
	v_fma_f16 v128, v86, v85, -v128
	s_delay_alu instid0(VALU_DEP_2) | instskip(SKIP_2) | instid1(VALU_DEP_1)
	v_fmac_f16_e32 v122, v86, v88
	ds_load_2addr_b32 v[85:86], v179 offset0:116 offset1:179
	v_lshrrev_b32_e32 v88, 16, v87
	v_mul_f16_e64 v129, v118, v88
	v_mul_f16_e32 v118, v118, v87
	s_delay_alu instid0(VALU_DEP_2) | instskip(NEXT) | instid1(VALU_DEP_2)
	v_fmac_f16_e64 v129, v84, v87
	v_fma_f16 v88, v84, v88, -v118
	s_wait_dscnt 0x0
	v_lshrrev_b32_e32 v87, 16, v86
	v_mul_f16_e64 v138, v166, v86
	v_mul_f16_e64 v84, v165, v85
	s_delay_alu instid0(VALU_DEP_3) | instskip(NEXT) | instid1(VALU_DEP_3)
	v_mul_f16_e64 v140, v166, v87
	v_fma_f16 v87, v83, v87, -v138
	s_delay_alu instid0(VALU_DEP_2) | instskip(SKIP_1) | instid1(VALU_DEP_1)
	v_fmac_f16_e64 v140, v83, v86
	v_lshrrev_b32_e32 v83, 16, v85
	v_mul_f16_e64 v86, v165, v83
	s_delay_alu instid0(VALU_DEP_1)
	v_fmac_f16_e32 v86, v81, v85
	v_fma_f16 v85, v81, v83, -v84
	ds_load_2addr_b32 v[83:84], v177 offset0:108 offset1:171
	s_wait_dscnt 0x0
	v_lshrrev_b32_e32 v81, 16, v84
	v_mul_f16_e64 v118, v162, v84
	v_mul_f16_e64 v144, v157, v83
	s_delay_alu instid0(VALU_DEP_3) | instskip(NEXT) | instid1(VALU_DEP_3)
	v_mul_f16_e64 v138, v162, v81
	v_fma_f16 v118, v82, v81, -v118
	s_delay_alu instid0(VALU_DEP_2) | instskip(SKIP_2) | instid1(VALU_DEP_1)
	v_fmac_f16_e64 v138, v82, v84
	ds_load_2addr_b32 v[81:82], v101 offset0:118 offset1:181
	v_lshrrev_b32_e32 v84, 16, v83
	v_mul_f16_e64 v141, v157, v84
	v_fma_f16 v84, v80, v84, -v144
	s_delay_alu instid0(VALU_DEP_2) | instskip(SKIP_4) | instid1(VALU_DEP_3)
	v_fmac_f16_e64 v141, v80, v83
	s_wait_dscnt 0x0
	v_lshrrev_b32_e32 v83, 16, v82
	v_mul_f16_e64 v146, v154, v82
	v_mul_f16_e64 v80, v142, v81
	;; [unrolled: 1-line block ×3, first 2 shown]
	s_delay_alu instid0(VALU_DEP_3) | instskip(NEXT) | instid1(VALU_DEP_2)
	v_fma_f16 v146, v79, v83, -v146
	v_fmac_f16_e64 v147, v79, v82
	v_lshrrev_b32_e32 v79, 16, v81
	s_delay_alu instid0(VALU_DEP_1)
	v_mul_f16_e64 v144, v142, v79
	v_fma_f16 v142, v77, v79, -v80
	ds_load_2addr_b32 v[79:80], v98 offset0:110 offset1:173
	v_fmac_f16_e64 v144, v77, v81
	s_wait_dscnt 0x0
	v_lshrrev_b32_e32 v77, 16, v80
	v_mul_f16_e64 v81, v139, v80
	v_mul_f16_e64 v82, v137, v79
	s_delay_alu instid0(VALU_DEP_3) | instskip(NEXT) | instid1(VALU_DEP_3)
	v_mul_f16_e64 v139, v139, v77
	v_fma_f16 v154, v78, v77, -v81
	s_delay_alu instid0(VALU_DEP_2) | instskip(SKIP_2) | instid1(VALU_DEP_1)
	v_fmac_f16_e64 v139, v78, v80
	ds_load_2addr_b32 v[77:78], v99 offset0:120 offset1:183
	v_lshrrev_b32_e32 v80, 16, v79
	v_mul_f16_e64 v81, v137, v80
	v_fma_f16 v80, v76, v80, -v82
	s_delay_alu instid0(VALU_DEP_2) | instskip(SKIP_3) | instid1(VALU_DEP_2)
	v_fmac_f16_e32 v81, v76, v79
	s_wait_dscnt 0x0
	v_lshrrev_b32_e32 v79, 16, v78
	v_mul_f16_e64 v83, v145, v78
	v_mul_f16_e64 v137, v145, v79
	s_delay_alu instid0(VALU_DEP_2) | instskip(NEXT) | instid1(VALU_DEP_2)
	v_fma_f16 v79, v75, v79, -v83
	v_fmac_f16_e64 v137, v75, v78
	ds_load_2addr_b32 v[75:76], v116 offset1:63
	v_add_f16_e32 v78, v79, v80
	v_sub_f16_e64 v157, v79, v80
	s_wait_dscnt 0x0
	v_lshrrev_b32_e32 v145, 16, v75
	s_delay_alu instid0(VALU_DEP_1) | instskip(SKIP_2) | instid1(VALU_DEP_3)
	v_add_f16_e64 v82, v145, v79
	v_fmac_f16_e64 v145, -0.5, v78
	v_add_f16_e64 v79, v75, v137
	v_add_f16_e32 v78, v82, v80
	v_add_f16_e64 v80, v137, v81
	s_delay_alu instid0(VALU_DEP_3) | instskip(SKIP_1) | instid1(VALU_DEP_3)
	v_add_f16_e32 v79, v79, v81
	v_sub_f16_e64 v137, v137, v81
	v_fma_f16 v75, -0.5, v80, v75
	s_delay_alu instid0(VALU_DEP_3) | instskip(NEXT) | instid1(VALU_DEP_3)
	v_pack_b32_f16 v162, v79, v78
	v_fma_f16 v79, 0x3aee, v137, v145
	v_fmac_f16_e64 v145, 0xbaee, v137
	v_lshrrev_b32_e32 v137, 16, v76
	v_fma_f16 v78, 0xbaee, v157, v75
	v_fmac_f16_e64 v75, 0x3aee, v157
	s_delay_alu instid0(VALU_DEP_3) | instskip(NEXT) | instid1(VALU_DEP_3)
	v_add_f16_e64 v157, v137, v142
	v_pack_b32_f16 v165, v78, v79
	s_delay_alu instid0(VALU_DEP_3)
	v_pack_b32_f16 v75, v75, v145
	ds_load_2addr_b32 v[78:79], v116 offset0:126 offset1:189
	ds_load_2addr_b32 v[80:81], v178 offset0:124 offset1:187
	;; [unrolled: 1-line block ×3, first 2 shown]
	global_wb scope:SCOPE_SE
	s_wait_dscnt 0x0
	s_barrier_signal -1
	s_barrier_wait -1
	global_inv scope:SCOPE_SE
	ds_store_b32 v242, v75 offset:24
	v_add_f16_e64 v75, v144, v139
	v_add_f16_e64 v145, v76, v144
	ds_store_2addr_b32 v242, v162, v165 offset1:3
	v_fmac_f16_e32 v76, -0.5, v75
	v_add_f16_e64 v75, v142, v154
	s_delay_alu instid0(VALU_DEP_1) | instskip(SKIP_1) | instid1(VALU_DEP_1)
	v_fmac_f16_e64 v137, -0.5, v75
	v_sub_f16_e64 v75, v142, v154
	v_fma_f16 v142, 0xbaee, v75, v76
	v_fmac_f16_e32 v76, 0x3aee, v75
	v_sub_f16_e64 v75, v144, v139
	s_delay_alu instid0(VALU_DEP_1) | instskip(SKIP_1) | instid1(VALU_DEP_1)
	v_fma_f16 v144, 0x3aee, v75, v137
	v_fmac_f16_e64 v137, 0xbaee, v75
	v_pack_b32_f16 v75, v76, v137
	v_add_f16_e64 v76, v145, v139
	v_add_f16_e64 v137, v157, v154
	s_delay_alu instid0(VALU_DEP_1)
	v_pack_b32_f16 v76, v76, v137
	v_pack_b32_f16 v137, v142, v144
	ds_store_2addr_b32 v247, v76, v137 offset1:3
	ds_store_b32 v247, v75 offset:24
	v_add_f16_e64 v75, v86, v138
	v_lshrrev_b32_e32 v76, 16, v79
	v_add_f16_e64 v137, v79, v86
	v_add_f16_e64 v142, v146, v84
	s_delay_alu instid0(VALU_DEP_4) | instskip(SKIP_2) | instid1(VALU_DEP_2)
	v_fmac_f16_e32 v79, -0.5, v75
	v_add_f16_e32 v75, v85, v118
	v_add_f16_e64 v139, v76, v85
	v_fmac_f16_e32 v76, -0.5, v75
	v_sub_f16_e32 v75, v85, v118
	s_delay_alu instid0(VALU_DEP_1) | instskip(SKIP_2) | instid1(VALU_DEP_1)
	v_fmamk_f16 v85, v75, 0xbaee, v79
	v_fmac_f16_e32 v79, 0x3aee, v75
	v_sub_f16_e64 v75, v86, v138
	v_fmamk_f16 v86, v75, 0x3aee, v76
	v_fmac_f16_e32 v76, 0xbaee, v75
	v_add_f16_e64 v75, v147, v141
	s_delay_alu instid0(VALU_DEP_2) | instskip(SKIP_1) | instid1(VALU_DEP_3)
	v_pack_b32_f16 v76, v79, v76
	v_lshrrev_b32_e32 v79, 16, v78
	v_fma_f16 v75, -0.5, v75, v78
	v_add_f16_e64 v78, v78, v147
	s_delay_alu instid0(VALU_DEP_3) | instskip(SKIP_2) | instid1(VALU_DEP_4)
	v_add_f16_e64 v144, v79, v146
	v_fmac_f16_e64 v79, -0.5, v142
	v_sub_f16_e64 v142, v146, v84
	v_add_f16_e64 v78, v78, v141
	v_sub_f16_e64 v141, v147, v141
	v_add_f16_e64 v84, v144, v84
	s_delay_alu instid0(VALU_DEP_2) | instskip(NEXT) | instid1(VALU_DEP_2)
	v_fma_f16 v144, 0x3aee, v141, v79
	v_pack_b32_f16 v78, v78, v84
	v_fma_f16 v84, 0xbaee, v142, v75
	v_fmac_f16_e64 v75, 0x3aee, v142
	v_fmac_f16_e64 v79, 0xbaee, v141
	s_delay_alu instid0(VALU_DEP_3) | instskip(NEXT) | instid1(VALU_DEP_2)
	v_pack_b32_f16 v84, v84, v144
	v_pack_b32_f16 v75, v75, v79
	ds_store_2addr_b32 v252, v78, v84 offset1:3
	v_add_f16_e64 v78, v139, v118
	ds_store_b32 v252, v75 offset:24
	v_add_f16_e64 v75, v137, v138
	s_delay_alu instid0(VALU_DEP_1)
	v_pack_b32_f16 v75, v75, v78
	v_pack_b32_f16 v78, v85, v86
	ds_store_2addr_b32 v254, v75, v78 offset1:3
	ds_store_b32 v254, v76 offset:24
	v_add_f16_e32 v75, v120, v122
	v_lshrrev_b32_e32 v76, 16, v81
	v_add_f16_e32 v78, v81, v120
	v_add_f16_e32 v86, v87, v88
	s_delay_alu instid0(VALU_DEP_4) | instskip(SKIP_2) | instid1(VALU_DEP_2)
	v_fmac_f16_e32 v81, -0.5, v75
	v_add_f16_e64 v75, v125, v128
	v_add_f16_e32 v79, v76, v125
	v_fmac_f16_e32 v76, -0.5, v75
	v_sub_f16_e64 v75, v125, v128
	s_delay_alu instid0(VALU_DEP_1) | instskip(SKIP_2) | instid1(VALU_DEP_1)
	v_fmamk_f16 v84, v75, 0xbaee, v81
	v_fmac_f16_e32 v81, 0x3aee, v75
	v_sub_f16_e32 v75, v120, v122
	v_fmamk_f16 v85, v75, 0x3aee, v76
	v_fmac_f16_e32 v76, 0xbaee, v75
	v_add_f16_e64 v75, v140, v129
	s_delay_alu instid0(VALU_DEP_2) | instskip(SKIP_1) | instid1(VALU_DEP_3)
	v_pack_b32_f16 v76, v81, v76
	v_lshrrev_b32_e32 v81, 16, v80
	v_fma_f16 v75, -0.5, v75, v80
	v_add_f16_e64 v80, v80, v140
	s_delay_alu instid0(VALU_DEP_3) | instskip(SKIP_2) | instid1(VALU_DEP_4)
	v_add_f16_e32 v118, v81, v87
	v_fmac_f16_e32 v81, -0.5, v86
	v_sub_f16_e32 v86, v87, v88
	v_add_f16_e64 v80, v80, v129
	s_delay_alu instid0(VALU_DEP_4) | instskip(SKIP_1) | instid1(VALU_DEP_2)
	v_add_f16_e32 v87, v118, v88
	v_sub_f16_e64 v88, v140, v129
	v_pack_b32_f16 v80, v80, v87
	v_fmamk_f16 v87, v86, 0xbaee, v75
	s_delay_alu instid0(VALU_DEP_3) | instskip(SKIP_2) | instid1(VALU_DEP_3)
	v_fmamk_f16 v118, v88, 0x3aee, v81
	v_fmac_f16_e32 v75, 0x3aee, v86
	v_fmac_f16_e32 v81, 0xbaee, v88
	v_pack_b32_f16 v87, v87, v118
	s_delay_alu instid0(VALU_DEP_2)
	v_pack_b32_f16 v75, v75, v81
	v_sub_f16_e32 v81, v126, v117
	ds_store_2addr_b32 v255, v80, v87 offset1:3
	v_add_f16_e32 v80, v126, v117
	ds_store_b32 v255, v75 offset:24
	v_add_f16_e32 v75, v78, v122
	v_add_f16_e64 v78, v79, v128
	v_add_f16_e32 v79, v82, v126
	v_add_f16_e32 v87, v77, v112
	s_delay_alu instid0(VALU_DEP_3)
	v_pack_b32_f16 v75, v75, v78
	v_pack_b32_f16 v78, v84, v85
	ds_store_2addr_b32 v119, v75, v78 offset1:3
	ds_store_b32 v119, v76 offset:24
	v_lshrrev_b32_e32 v75, 16, v82
	v_add_f16_e64 v76, v135, v90
	v_add_f16_e32 v79, v79, v117
	s_delay_alu instid0(VALU_DEP_3) | instskip(NEXT) | instid1(VALU_DEP_3)
	v_add_f16_e64 v78, v75, v135
	v_fmac_f16_e32 v75, -0.5, v76
	v_sub_f16_e64 v76, v135, v90
	s_delay_alu instid0(VALU_DEP_3) | instskip(NEXT) | instid1(VALU_DEP_1)
	v_add_f16_e32 v78, v78, v90
	v_pack_b32_f16 v78, v79, v78
	v_fma_f16 v79, -0.5, v80, v82
	v_fmamk_f16 v82, v81, 0x3aee, v75
	v_fmac_f16_e32 v75, 0xbaee, v81
	s_delay_alu instid0(VALU_DEP_3) | instskip(SKIP_1) | instid1(VALU_DEP_2)
	v_fmamk_f16 v80, v76, 0xbaee, v79
	v_fmac_f16_e32 v79, 0x3aee, v76
	v_pack_b32_f16 v80, v80, v82
	v_add_f16_e32 v82, v83, v92
	s_delay_alu instid0(VALU_DEP_3)
	v_pack_b32_f16 v75, v79, v75
	ds_store_2addr_b32 v253, v78, v80 offset1:3
	v_add_f16_e32 v78, v92, v89
	v_lshrrev_b32_e32 v80, 16, v83
	ds_store_b32 v253, v75 offset:24
	v_add_f16_e32 v75, v82, v89
	v_fmac_f16_e32 v83, -0.5, v78
	v_add_f16_e32 v78, v113, v91
	v_add_f16_e32 v84, v80, v113
	s_delay_alu instid0(VALU_DEP_2) | instskip(SKIP_1) | instid1(VALU_DEP_3)
	v_fmac_f16_e32 v80, -0.5, v78
	v_sub_f16_e32 v78, v113, v91
	v_add_f16_e32 v76, v84, v91
	s_delay_alu instid0(VALU_DEP_2) | instskip(SKIP_2) | instid1(VALU_DEP_4)
	v_fmamk_f16 v85, v78, 0xbaee, v83
	v_fmac_f16_e32 v83, 0x3aee, v78
	v_sub_f16_e32 v78, v92, v89
	v_pack_b32_f16 v75, v75, v76
	s_delay_alu instid0(VALU_DEP_2) | instskip(SKIP_1) | instid1(VALU_DEP_2)
	v_fmamk_f16 v86, v78, 0x3aee, v80
	v_fmac_f16_e32 v80, 0xbaee, v78
	v_pack_b32_f16 v76, v85, v86
	s_delay_alu instid0(VALU_DEP_2)
	v_pack_b32_f16 v78, v83, v80
	v_add_f16_e32 v80, v112, v104
	v_lshrrev_b32_e32 v83, 16, v77
	ds_store_2addr_b32 v121, v75, v76 offset1:3
	ds_store_b32 v121, v78 offset:24
	v_add_f16_e32 v75, v87, v104
	v_fmac_f16_e32 v77, -0.5, v80
	v_add_f16_e32 v80, v115, v114
	v_add_f16_e32 v88, v83, v115
	s_delay_alu instid0(VALU_DEP_2) | instskip(SKIP_1) | instid1(VALU_DEP_3)
	v_fmac_f16_e32 v83, -0.5, v80
	v_sub_f16_e32 v80, v115, v114
	v_add_f16_e32 v76, v88, v114
	s_delay_alu instid0(VALU_DEP_2) | instskip(SKIP_2) | instid1(VALU_DEP_4)
	v_fmamk_f16 v90, v80, 0xbaee, v77
	v_fmac_f16_e32 v77, 0x3aee, v80
	v_sub_f16_e32 v80, v112, v104
	v_pack_b32_f16 v75, v75, v76
	s_delay_alu instid0(VALU_DEP_2) | instskip(SKIP_1) | instid1(VALU_DEP_2)
	v_fmamk_f16 v92, v80, 0x3aee, v83
	v_fmac_f16_e32 v83, 0xbaee, v80
	v_pack_b32_f16 v76, v90, v92
	s_delay_alu instid0(VALU_DEP_2)
	v_pack_b32_f16 v77, v77, v83
	ds_store_2addr_b32 v127, v75, v76 offset1:3
	ds_store_b32 v127, v77 offset:24
	global_wb scope:SCOPE_SE
	s_wait_dscnt 0x0
	s_barrier_signal -1
	s_barrier_wait -1
	global_inv scope:SCOPE_SE
	ds_load_2addr_b32 v[78:79], v173 offset0:112 offset1:175
	ds_load_b32 v80, v116 offset:6552
	s_wait_dscnt 0x1
	v_lshrrev_b32_e32 v75, 16, v79
	v_mul_f16_e64 v77, v151, v79
	s_wait_dscnt 0x0
	v_lshrrev_b32_e32 v81, 16, v80
	v_mul_f16_e64 v82, v149, v80
	v_mul_f16_e64 v76, v151, v75
	v_fma_f16 v77, v73, v75, -v77
	s_delay_alu instid0(VALU_DEP_4) | instskip(NEXT) | instid1(VALU_DEP_3)
	v_mul_f16_e64 v75, v149, v81
	v_fmac_f16_e32 v76, v73, v79
	v_lshrrev_b32_e32 v73, 16, v78
	s_delay_alu instid0(VALU_DEP_3) | instskip(SKIP_2) | instid1(VALU_DEP_4)
	v_fmac_f16_e32 v75, v74, v80
	v_mul_f16_e64 v79, v148, v78
	v_fma_f16 v74, v74, v81, -v82
	v_mul_f16_e64 v80, v148, v73
	s_delay_alu instid0(VALU_DEP_3) | instskip(NEXT) | instid1(VALU_DEP_2)
	v_fma_f16 v81, v71, v73, -v79
	v_fmac_f16_e32 v80, v71, v78
	ds_load_2addr_b32 v[78:79], v134 offset0:104 offset1:167
	s_wait_dscnt 0x0
	v_lshrrev_b32_e32 v73, 16, v79
	v_mul_f16_e64 v82, v143, v79
	v_mul_f16_e64 v83, v136, v78
	s_delay_alu instid0(VALU_DEP_3) | instskip(NEXT) | instid1(VALU_DEP_3)
	v_mul_f16_e64 v71, v143, v73
	v_fma_f16 v73, v72, v73, -v82
	s_delay_alu instid0(VALU_DEP_2) | instskip(SKIP_1) | instid1(VALU_DEP_1)
	v_fmac_f16_e32 v71, v72, v79
	v_lshrrev_b32_e32 v72, 16, v78
	v_mul_f16_e64 v82, v136, v72
	v_fma_f16 v72, v70, v72, -v83
	s_delay_alu instid0(VALU_DEP_2)
	v_fmac_f16_e32 v82, v70, v78
	ds_load_2addr_b32 v[78:79], v100 offset0:114 offset1:177
	s_wait_dscnt 0x0
	v_lshrrev_b32_e32 v84, 16, v79
	v_mul_f16_e64 v85, v133, v79
	v_mul_f16_e64 v70, v131, v78
	s_delay_alu instid0(VALU_DEP_3) | instskip(NEXT) | instid1(VALU_DEP_3)
	v_mul_f16_e64 v86, v133, v84
	v_fma_f16 v84, v69, v84, -v85
	s_delay_alu instid0(VALU_DEP_2) | instskip(SKIP_1) | instid1(VALU_DEP_1)
	v_fmac_f16_e32 v86, v69, v79
	v_lshrrev_b32_e32 v69, 16, v78
	v_mul_f16_e64 v79, v131, v69
	s_delay_alu instid0(VALU_DEP_1)
	v_fmac_f16_e32 v79, v67, v78
	v_fma_f16 v78, v67, v69, -v70
	ds_load_2addr_b32 v[69:70], v105 offset0:106 offset1:169
	s_wait_dscnt 0x0
	v_lshrrev_b32_e32 v67, 16, v70
	v_mul_f16_e64 v83, v130, v70
	v_mul_f16_e32 v88, v124, v69
	s_delay_alu instid0(VALU_DEP_3) | instskip(NEXT) | instid1(VALU_DEP_3)
	v_mul_f16_e64 v85, v130, v67
	v_fma_f16 v83, v68, v67, -v83
	s_delay_alu instid0(VALU_DEP_2) | instskip(SKIP_2) | instid1(VALU_DEP_1)
	v_fmac_f16_e32 v85, v68, v70
	ds_load_2addr_b32 v[67:68], v179 offset0:116 offset1:179
	v_lshrrev_b32_e32 v70, 16, v69
	v_mul_f16_e32 v87, v124, v70
	v_fma_f16 v70, v66, v70, -v88
	s_delay_alu instid0(VALU_DEP_2) | instskip(SKIP_4) | instid1(VALU_DEP_3)
	v_fmac_f16_e32 v87, v66, v69
	s_wait_dscnt 0x0
	v_lshrrev_b32_e32 v69, 16, v68
	v_mul_f16_e32 v89, v123, v68
	v_mul_f16_e64 v66, v251, v67
	v_mul_f16_e32 v90, v123, v69
	s_delay_alu instid0(VALU_DEP_3) | instskip(NEXT) | instid1(VALU_DEP_2)
	v_fma_f16 v69, v65, v69, -v89
	v_fmac_f16_e32 v90, v65, v68
	v_lshrrev_b32_e32 v65, 16, v67
	s_delay_alu instid0(VALU_DEP_1) | instskip(NEXT) | instid1(VALU_DEP_1)
	v_mul_f16_e64 v68, v251, v65
	v_fmac_f16_e32 v68, v63, v67
	v_fma_f16 v67, v63, v65, -v66
	ds_load_2addr_b32 v[65:66], v177 offset0:108 offset1:171
	s_wait_dscnt 0x0
	v_lshrrev_b32_e32 v63, 16, v66
	v_mul_f16_e64 v88, v249, v66
	v_mul_f16_e64 v92, v246, v65
	s_delay_alu instid0(VALU_DEP_3) | instskip(NEXT) | instid1(VALU_DEP_3)
	v_mul_f16_e64 v89, v249, v63
	v_fma_f16 v88, v64, v63, -v88
	s_delay_alu instid0(VALU_DEP_2) | instskip(SKIP_2) | instid1(VALU_DEP_1)
	v_fmac_f16_e32 v89, v64, v66
	ds_load_2addr_b32 v[63:64], v101 offset0:118 offset1:181
	v_lshrrev_b32_e32 v66, 16, v65
	v_mul_f16_e64 v91, v246, v66
	v_fma_f16 v66, v62, v66, -v92
	s_delay_alu instid0(VALU_DEP_2) | instskip(SKIP_4) | instid1(VALU_DEP_3)
	v_fmac_f16_e32 v91, v62, v65
	s_wait_dscnt 0x0
	v_lshrrev_b32_e32 v65, 16, v64
	v_mul_f16_e64 v104, v245, v64
	v_mul_f16_e64 v62, v229, v63
	;; [unrolled: 1-line block ×3, first 2 shown]
	s_delay_alu instid0(VALU_DEP_3) | instskip(NEXT) | instid1(VALU_DEP_2)
	v_fma_f16 v104, v61, v65, -v104
	v_fmac_f16_e32 v112, v61, v64
	v_lshrrev_b32_e32 v61, 16, v63
	s_delay_alu instid0(VALU_DEP_1)
	v_mul_f16_e64 v92, v229, v61
	v_fma_f16 v113, v59, v61, -v62
	ds_load_2addr_b32 v[61:62], v98 offset0:110 offset1:173
	v_fmac_f16_e32 v92, v59, v63
	s_wait_dscnt 0x0
	v_lshrrev_b32_e32 v59, 16, v62
	v_mul_f16_e64 v63, v226, v62
	v_mul_f16_e64 v64, v224, v61
	s_delay_alu instid0(VALU_DEP_3) | instskip(NEXT) | instid1(VALU_DEP_3)
	v_mul_f16_e64 v114, v226, v59
	v_fma_f16 v115, v60, v59, -v63
	s_delay_alu instid0(VALU_DEP_2) | instskip(SKIP_2) | instid1(VALU_DEP_1)
	v_fmac_f16_e32 v114, v60, v62
	ds_load_2addr_b32 v[59:60], v99 offset0:120 offset1:183
	v_lshrrev_b32_e32 v62, 16, v61
	v_mul_f16_e64 v63, v224, v62
	v_fma_f16 v62, v58, v62, -v64
	s_delay_alu instid0(VALU_DEP_2) | instskip(SKIP_3) | instid1(VALU_DEP_2)
	v_fmac_f16_e32 v63, v58, v61
	s_wait_dscnt 0x0
	v_lshrrev_b32_e32 v61, 16, v60
	v_mul_f16_e64 v65, v231, v60
	v_mul_f16_e64 v117, v231, v61
	s_delay_alu instid0(VALU_DEP_2) | instskip(NEXT) | instid1(VALU_DEP_2)
	v_fma_f16 v61, v57, v61, -v65
	v_fmac_f16_e32 v117, v57, v60
	ds_load_2addr_b32 v[57:58], v116 offset1:63
	v_add_f16_e32 v60, v61, v62
	v_sub_f16_e32 v119, v61, v62
	s_wait_dscnt 0x0
	v_lshrrev_b32_e32 v118, 16, v57
	s_delay_alu instid0(VALU_DEP_1) | instskip(SKIP_2) | instid1(VALU_DEP_3)
	v_add_f16_e32 v64, v118, v61
	v_fmac_f16_e32 v118, -0.5, v60
	v_add_f16_e32 v61, v57, v117
	v_add_f16_e32 v60, v64, v62
	;; [unrolled: 1-line block ×3, first 2 shown]
	s_delay_alu instid0(VALU_DEP_3) | instskip(SKIP_1) | instid1(VALU_DEP_3)
	v_add_f16_e32 v61, v61, v63
	v_sub_f16_e32 v117, v117, v63
	v_fma_f16 v57, -0.5, v62, v57
	s_delay_alu instid0(VALU_DEP_3) | instskip(NEXT) | instid1(VALU_DEP_3)
	v_pack_b32_f16 v120, v61, v60
	v_fmamk_f16 v61, v117, 0x3aee, v118
	v_fmac_f16_e32 v118, 0xbaee, v117
	v_lshrrev_b32_e32 v117, 16, v58
	v_fmamk_f16 v60, v119, 0xbaee, v57
	v_fmac_f16_e32 v57, 0x3aee, v119
	s_delay_alu instid0(VALU_DEP_3) | instskip(NEXT) | instid1(VALU_DEP_3)
	v_add_f16_e32 v119, v117, v113
	v_pack_b32_f16 v121, v60, v61
	ds_load_2addr_b32 v[60:61], v116 offset0:126 offset1:189
	ds_load_2addr_b32 v[62:63], v178 offset0:124 offset1:187
	;; [unrolled: 1-line block ×3, first 2 shown]
	global_wb scope:SCOPE_SE
	s_wait_dscnt 0x0
	s_barrier_signal -1
	s_barrier_wait -1
	global_inv scope:SCOPE_SE
	scratch_load_b32 v122, off, off offset:208 th:TH_LOAD_LU ; 4-byte Folded Reload
	v_pack_b32_f16 v57, v57, v118
	v_add_f16_e32 v118, v58, v92
	s_wait_loadcnt 0x0
	ds_store_b32 v122, v57 offset:72
	v_add_f16_e32 v57, v92, v114
	ds_store_2addr_b32 v122, v120, v121 offset1:9
	v_fmac_f16_e32 v58, -0.5, v57
	v_add_f16_e32 v57, v113, v115
	s_delay_alu instid0(VALU_DEP_1) | instskip(SKIP_1) | instid1(VALU_DEP_1)
	v_fmac_f16_e32 v117, -0.5, v57
	v_sub_f16_e32 v57, v113, v115
	v_fmamk_f16 v113, v57, 0xbaee, v58
	v_fmac_f16_e32 v58, 0x3aee, v57
	v_sub_f16_e32 v57, v92, v114
	s_delay_alu instid0(VALU_DEP_1) | instskip(SKIP_1) | instid1(VALU_DEP_2)
	v_fmamk_f16 v92, v57, 0x3aee, v117
	v_fmac_f16_e32 v117, 0xbaee, v57
	v_pack_b32_f16 v92, v113, v92
	scratch_load_b32 v113, off, off offset:212 th:TH_LOAD_LU ; 4-byte Folded Reload
	v_pack_b32_f16 v57, v58, v117
	v_add_f16_e32 v58, v118, v114
	v_add_f16_e32 v114, v119, v115
	s_delay_alu instid0(VALU_DEP_1)
	v_pack_b32_f16 v58, v58, v114
	v_add_f16_e32 v114, v104, v66
	s_wait_loadcnt 0x0
	ds_store_2addr_b32 v113, v58, v92 offset1:9
	ds_store_b32 v113, v57 offset:72
	v_add_f16_e32 v57, v68, v89
	v_lshrrev_b32_e32 v58, 16, v61
	v_add_f16_e32 v92, v61, v68
	s_delay_alu instid0(VALU_DEP_3) | instskip(SKIP_1) | instid1(VALU_DEP_4)
	v_fmac_f16_e32 v61, -0.5, v57
	v_add_f16_e32 v57, v67, v88
	v_add_f16_e32 v113, v58, v67
	s_delay_alu instid0(VALU_DEP_2) | instskip(SKIP_1) | instid1(VALU_DEP_1)
	v_fmac_f16_e32 v58, -0.5, v57
	v_sub_f16_e32 v57, v67, v88
	v_fmamk_f16 v67, v57, 0xbaee, v61
	v_fmac_f16_e32 v61, 0x3aee, v57
	v_sub_f16_e32 v57, v68, v89
	s_delay_alu instid0(VALU_DEP_1) | instskip(SKIP_2) | instid1(VALU_DEP_2)
	v_fmamk_f16 v68, v57, 0x3aee, v58
	v_fmac_f16_e32 v58, 0xbaee, v57
	v_add_f16_e32 v57, v112, v91
	v_pack_b32_f16 v58, v61, v58
	v_lshrrev_b32_e32 v61, 16, v60
	s_delay_alu instid0(VALU_DEP_3) | instskip(SKIP_1) | instid1(VALU_DEP_3)
	v_fma_f16 v57, -0.5, v57, v60
	v_add_f16_e32 v60, v60, v112
	v_add_f16_e32 v115, v61, v104
	v_fmac_f16_e32 v61, -0.5, v114
	v_sub_f16_e32 v104, v104, v66
	s_delay_alu instid0(VALU_DEP_4) | instskip(SKIP_2) | instid1(VALU_DEP_2)
	v_add_f16_e32 v60, v60, v91
	v_sub_f16_e32 v91, v112, v91
	v_add_f16_e32 v66, v115, v66
	v_fmamk_f16 v112, v91, 0x3aee, v61
	s_delay_alu instid0(VALU_DEP_2) | instskip(SKIP_3) | instid1(VALU_DEP_3)
	v_pack_b32_f16 v60, v60, v66
	v_fmamk_f16 v66, v104, 0xbaee, v57
	v_fmac_f16_e32 v57, 0x3aee, v104
	v_fmac_f16_e32 v61, 0xbaee, v91
	v_pack_b32_f16 v66, v66, v112
	scratch_load_b32 v112, off, off offset:216 th:TH_LOAD_LU ; 4-byte Folded Reload
	v_pack_b32_f16 v57, v57, v61
	scratch_load_b32 v61, off, off offset:224 th:TH_LOAD_LU ; 4-byte Folded Reload
	s_wait_loadcnt 0x1
	ds_store_2addr_b32 v112, v60, v66 offset1:9
	ds_store_b32 v112, v57 offset:72
	v_add_f16_e32 v57, v92, v89
	v_add_f16_e32 v60, v113, v88
	s_delay_alu instid0(VALU_DEP_1)
	v_pack_b32_f16 v57, v57, v60
	v_pack_b32_f16 v60, v67, v68
	s_wait_loadcnt 0x0
	ds_store_2addr_b32 v61, v57, v60 offset1:9
	ds_store_b32 v61, v58 offset:72
	v_add_f16_e32 v57, v79, v85
	v_lshrrev_b32_e32 v58, 16, v63
	v_add_f16_e32 v60, v63, v79
	v_add_f16_e32 v68, v69, v70
	s_delay_alu instid0(VALU_DEP_4) | instskip(SKIP_2) | instid1(VALU_DEP_2)
	v_fmac_f16_e32 v63, -0.5, v57
	v_add_f16_e32 v57, v78, v83
	v_add_f16_e32 v61, v58, v78
	v_fmac_f16_e32 v58, -0.5, v57
	v_sub_f16_e32 v57, v78, v83
	s_delay_alu instid0(VALU_DEP_1) | instskip(SKIP_2) | instid1(VALU_DEP_1)
	v_fmamk_f16 v66, v57, 0xbaee, v63
	v_fmac_f16_e32 v63, 0x3aee, v57
	v_sub_f16_e32 v57, v79, v85
	v_fmamk_f16 v67, v57, 0x3aee, v58
	v_fmac_f16_e32 v58, 0xbaee, v57
	v_add_f16_e32 v57, v90, v87
	s_delay_alu instid0(VALU_DEP_2) | instskip(SKIP_1) | instid1(VALU_DEP_3)
	v_pack_b32_f16 v58, v63, v58
	v_lshrrev_b32_e32 v63, 16, v62
	v_fma_f16 v57, -0.5, v57, v62
	v_add_f16_e32 v62, v62, v90
	s_delay_alu instid0(VALU_DEP_3) | instskip(SKIP_2) | instid1(VALU_DEP_4)
	v_add_f16_e32 v78, v63, v69
	v_fmac_f16_e32 v63, -0.5, v68
	v_sub_f16_e32 v68, v69, v70
	v_add_f16_e32 v62, v62, v87
	s_delay_alu instid0(VALU_DEP_4) | instskip(SKIP_1) | instid1(VALU_DEP_2)
	v_add_f16_e32 v69, v78, v70
	v_sub_f16_e32 v70, v90, v87
	v_pack_b32_f16 v62, v62, v69
	v_fmamk_f16 v69, v68, 0xbaee, v57
	s_delay_alu instid0(VALU_DEP_3) | instskip(SKIP_2) | instid1(VALU_DEP_3)
	v_fmamk_f16 v78, v70, 0x3aee, v63
	v_fmac_f16_e32 v57, 0x3aee, v68
	v_fmac_f16_e32 v63, 0xbaee, v70
	v_pack_b32_f16 v69, v69, v78
	scratch_load_b32 v78, off, off offset:228 th:TH_LOAD_LU ; 4-byte Folded Reload
	v_pack_b32_f16 v57, v57, v63
	v_sub_f16_e32 v63, v86, v82
	s_wait_loadcnt 0x0
	ds_store_b32 v78, v57 offset:72
	v_add_f16_e32 v57, v60, v85
	v_add_f16_e32 v60, v61, v83
	scratch_load_b32 v61, off, off offset:232 th:TH_LOAD_LU ; 4-byte Folded Reload
	ds_store_2addr_b32 v78, v62, v69 offset1:9
	v_add_f16_e32 v62, v86, v82
	v_add_f16_e32 v69, v59, v76
	v_pack_b32_f16 v57, v57, v60
	v_pack_b32_f16 v60, v66, v67
	s_wait_loadcnt 0x0
	ds_store_2addr_b32 v61, v57, v60 offset1:9
	ds_store_b32 v61, v58 offset:72
	scratch_load_b32 v78, off, off offset:220 th:TH_LOAD_LU ; 4-byte Folded Reload
	v_lshrrev_b32_e32 v57, 16, v64
	v_add_f16_e32 v61, v64, v86
	v_add_f16_e32 v58, v84, v72
	s_delay_alu instid0(VALU_DEP_3) | instskip(NEXT) | instid1(VALU_DEP_3)
	v_add_f16_e32 v60, v57, v84
	v_add_f16_e32 v61, v61, v82
	s_delay_alu instid0(VALU_DEP_3) | instskip(SKIP_1) | instid1(VALU_DEP_4)
	v_fmac_f16_e32 v57, -0.5, v58
	v_sub_f16_e32 v58, v84, v72
	v_add_f16_e32 v60, v60, v72
	s_delay_alu instid0(VALU_DEP_1) | instskip(SKIP_3) | instid1(VALU_DEP_3)
	v_pack_b32_f16 v60, v61, v60
	v_fma_f16 v61, -0.5, v62, v64
	v_fmamk_f16 v64, v63, 0x3aee, v57
	v_fmac_f16_e32 v57, 0xbaee, v63
	v_fmamk_f16 v62, v58, 0xbaee, v61
	v_fmac_f16_e32 v61, 0x3aee, v58
	s_delay_alu instid0(VALU_DEP_2) | instskip(NEXT) | instid1(VALU_DEP_2)
	v_pack_b32_f16 v62, v62, v64
	v_pack_b32_f16 v57, v61, v57
	scratch_load_b32 v61, off, off offset:236 th:TH_LOAD_LU ; 4-byte Folded Reload
	v_add_f16_e32 v64, v65, v80
	s_wait_loadcnt 0x1
	ds_store_2addr_b32 v78, v60, v62 offset1:9
	v_add_f16_e32 v60, v80, v71
	v_lshrrev_b32_e32 v62, 16, v65
	ds_store_b32 v78, v57 offset:72
	v_add_f16_e32 v57, v64, v71
	v_fmac_f16_e32 v65, -0.5, v60
	v_add_f16_e32 v60, v81, v73
	v_add_f16_e32 v66, v62, v81
	s_delay_alu instid0(VALU_DEP_2) | instskip(SKIP_1) | instid1(VALU_DEP_3)
	v_fmac_f16_e32 v62, -0.5, v60
	v_sub_f16_e32 v60, v81, v73
	v_add_f16_e32 v58, v66, v73
	s_delay_alu instid0(VALU_DEP_2) | instskip(SKIP_2) | instid1(VALU_DEP_4)
	v_fmamk_f16 v67, v60, 0xbaee, v65
	v_fmac_f16_e32 v65, 0x3aee, v60
	v_sub_f16_e32 v60, v80, v71
	v_pack_b32_f16 v57, v57, v58
	v_lshrrev_b32_e32 v80, 16, v17
	s_delay_alu instid0(VALU_DEP_3) | instskip(SKIP_1) | instid1(VALU_DEP_2)
	v_fmamk_f16 v68, v60, 0x3aee, v62
	v_fmac_f16_e32 v62, 0xbaee, v60
	v_pack_b32_f16 v58, v67, v68
	s_delay_alu instid0(VALU_DEP_2)
	v_pack_b32_f16 v60, v65, v62
	s_wait_loadcnt 0x0
	ds_store_2addr_b32 v61, v57, v58 offset1:9
	ds_store_b32 v61, v60 offset:72
	scratch_load_b32 v60, off, off offset:240 th:TH_LOAD_LU ; 4-byte Folded Reload
	v_add_f16_e32 v62, v76, v75
	v_lshrrev_b32_e32 v65, 16, v59
	v_add_f16_e32 v57, v69, v75
	s_delay_alu instid0(VALU_DEP_3) | instskip(SKIP_1) | instid1(VALU_DEP_4)
	v_fmac_f16_e32 v59, -0.5, v62
	v_add_f16_e32 v62, v77, v74
	v_add_f16_e32 v70, v65, v77
	s_delay_alu instid0(VALU_DEP_2) | instskip(SKIP_1) | instid1(VALU_DEP_3)
	v_fmac_f16_e32 v65, -0.5, v62
	v_sub_f16_e32 v62, v77, v74
	v_add_f16_e32 v58, v70, v74
	s_delay_alu instid0(VALU_DEP_2) | instskip(SKIP_2) | instid1(VALU_DEP_4)
	v_fmamk_f16 v72, v62, 0xbaee, v59
	v_fmac_f16_e32 v59, 0x3aee, v62
	v_sub_f16_e32 v62, v76, v75
	v_pack_b32_f16 v57, v57, v58
	s_delay_alu instid0(VALU_DEP_2) | instskip(SKIP_1) | instid1(VALU_DEP_2)
	v_fmamk_f16 v76, v62, 0x3aee, v65
	v_fmac_f16_e32 v65, 0xbaee, v62
	v_pack_b32_f16 v58, v72, v76
	s_delay_alu instid0(VALU_DEP_2)
	v_pack_b32_f16 v59, v59, v65
	v_lshrrev_b32_e32 v72, 16, v37
	v_lshrrev_b32_e32 v76, 16, v21
	s_wait_loadcnt 0x0
	ds_store_2addr_b32 v60, v57, v58 offset1:9
	ds_store_b32 v60, v59 offset:72
	global_wb scope:SCOPE_SE
	s_wait_dscnt 0x0
	s_barrier_signal -1
	s_barrier_wait -1
	global_inv scope:SCOPE_SE
	ds_load_2addr_b32 v[60:61], v173 offset0:112 offset1:175
	ds_load_b32 v62, v116 offset:6552
	s_wait_dscnt 0x1
	v_lshrrev_b32_e32 v57, 16, v61
	v_mul_f16_e64 v59, v240, v61
	s_wait_dscnt 0x0
	v_lshrrev_b32_e32 v63, 16, v62
	v_mul_f16_e64 v64, v238, v62
	v_mul_f16_e64 v58, v240, v57
	v_fma_f16 v59, v49, v57, -v59
	s_delay_alu instid0(VALU_DEP_4) | instskip(NEXT) | instid1(VALU_DEP_3)
	v_mul_f16_e64 v57, v238, v63
	v_fmac_f16_e32 v58, v49, v61
	v_lshrrev_b32_e32 v49, 16, v60
	s_delay_alu instid0(VALU_DEP_3) | instskip(SKIP_2) | instid1(VALU_DEP_4)
	v_fmac_f16_e32 v57, v50, v62
	v_mul_f16_e64 v61, v233, v60
	v_fma_f16 v50, v50, v63, -v64
	v_mul_f16_e64 v62, v233, v49
	s_delay_alu instid0(VALU_DEP_3) | instskip(NEXT) | instid1(VALU_DEP_2)
	v_fma_f16 v63, v45, v49, -v61
	v_fmac_f16_e32 v62, v45, v60
	ds_load_2addr_b32 v[60:61], v134 offset0:104 offset1:167
	s_wait_dscnt 0x0
	v_lshrrev_b32_e32 v49, 16, v61
	v_mul_f16_e64 v64, v232, v61
	v_mul_f16_e64 v65, v228, v60
	s_delay_alu instid0(VALU_DEP_3) | instskip(NEXT) | instid1(VALU_DEP_3)
	v_mul_f16_e64 v45, v232, v49
	v_fma_f16 v49, v46, v49, -v64
	s_delay_alu instid0(VALU_DEP_2) | instskip(SKIP_1) | instid1(VALU_DEP_1)
	v_fmac_f16_e32 v45, v46, v61
	v_lshrrev_b32_e32 v46, 16, v60
	v_mul_f16_e64 v64, v228, v46
	v_fma_f16 v46, v44, v46, -v65
	s_delay_alu instid0(VALU_DEP_2)
	v_fmac_f16_e32 v64, v44, v60
	ds_load_2addr_b32 v[60:61], v100 offset0:114 offset1:177
	s_wait_dscnt 0x0
	v_lshrrev_b32_e32 v66, 16, v61
	v_mul_f16_e64 v67, v225, v61
	v_mul_f16_e64 v44, v221, v60
	s_delay_alu instid0(VALU_DEP_3) | instskip(NEXT) | instid1(VALU_DEP_3)
	v_mul_f16_e64 v68, v225, v66
	v_fma_f16 v66, v43, v66, -v67
	s_delay_alu instid0(VALU_DEP_2) | instskip(SKIP_1) | instid1(VALU_DEP_1)
	v_fmac_f16_e32 v68, v43, v61
	v_lshrrev_b32_e32 v43, 16, v60
	v_mul_f16_e64 v61, v221, v43
	s_delay_alu instid0(VALU_DEP_1)
	v_fmac_f16_e32 v61, v39, v60
	v_fma_f16 v60, v39, v43, -v44
	ds_load_2addr_b32 v[43:44], v105 offset0:106 offset1:169
	s_wait_dscnt 0x0
	v_lshrrev_b32_e32 v39, 16, v44
	v_mul_f16_e64 v65, v220, v44
	s_delay_alu instid0(VALU_DEP_2) | instskip(NEXT) | instid1(VALU_DEP_2)
	v_mul_f16_e64 v67, v220, v39
	v_fma_f16 v65, v40, v39, -v65
	v_lshrrev_b32_e32 v39, 16, v38
	s_delay_alu instid0(VALU_DEP_3) | instskip(SKIP_1) | instid1(VALU_DEP_3)
	v_fmac_f16_e32 v67, v40, v44
	v_lshrrev_b32_e32 v44, 16, v43
	v_mul_f16_e32 v70, v39, v43
	s_delay_alu instid0(VALU_DEP_2)
	v_mul_f16_e32 v69, v39, v44
	ds_load_2addr_b32 v[39:40], v179 offset0:116 offset1:179
	v_fma_f16 v44, v38, v44, -v70
	v_fmac_f16_e32 v69, v38, v43
	v_lshrrev_b32_e32 v38, 16, v23
	s_wait_dscnt 0x0
	v_lshrrev_b32_e32 v43, 16, v40
	v_mul_f16_e32 v71, v72, v40
	s_delay_alu instid0(VALU_DEP_2) | instskip(NEXT) | instid1(VALU_DEP_2)
	v_mul_f16_e32 v72, v72, v43
	v_fma_f16 v43, v37, v43, -v71
	v_lshrrev_b32_e32 v71, 16, v24
	s_delay_alu instid0(VALU_DEP_3) | instskip(SKIP_1) | instid1(VALU_DEP_1)
	v_fmac_f16_e32 v72, v37, v40
	v_lshrrev_b32_e32 v37, 16, v39
	v_mul_f16_e32 v40, v38, v37
	v_mul_f16_e32 v38, v38, v39
	s_delay_alu instid0(VALU_DEP_2) | instskip(NEXT) | instid1(VALU_DEP_2)
	v_fmac_f16_e32 v40, v23, v39
	v_fma_f16 v39, v23, v37, -v38
	ds_load_2addr_b32 v[37:38], v177 offset0:108 offset1:171
	s_wait_dscnt 0x0
	v_lshrrev_b32_e32 v23, 16, v38
	v_mul_f16_e32 v70, v71, v38
	s_delay_alu instid0(VALU_DEP_2) | instskip(NEXT) | instid1(VALU_DEP_2)
	v_mul_f16_e32 v71, v71, v23
	v_fma_f16 v70, v24, v23, -v70
	v_lshrrev_b32_e32 v23, 16, v22
	s_delay_alu instid0(VALU_DEP_3) | instskip(SKIP_1) | instid1(VALU_DEP_3)
	v_fmac_f16_e32 v71, v24, v38
	v_lshrrev_b32_e32 v38, 16, v37
	v_mul_f16_e32 v74, v23, v37
	s_delay_alu instid0(VALU_DEP_2)
	v_mul_f16_e32 v73, v23, v38
	ds_load_2addr_b32 v[23:24], v101 offset0:118 offset1:181
	v_fma_f16 v74, v22, v38, -v74
	v_fmac_f16_e32 v73, v22, v37
	v_lshrrev_b32_e32 v22, 16, v19
	s_wait_dscnt 0x0
	v_lshrrev_b32_e32 v37, 16, v24
	v_mul_f16_e32 v75, v76, v24
	s_delay_alu instid0(VALU_DEP_2) | instskip(NEXT) | instid1(VALU_DEP_2)
	v_mul_f16_e32 v76, v76, v37
	v_fma_f16 v75, v21, v37, -v75
	v_lshrrev_b32_e32 v37, 16, v20
	s_delay_alu instid0(VALU_DEP_3) | instskip(SKIP_1) | instid1(VALU_DEP_1)
	v_fmac_f16_e32 v76, v21, v24
	v_lshrrev_b32_e32 v21, 16, v23
	v_mul_f16_e32 v24, v22, v21
	v_mul_f16_e32 v22, v22, v23
	s_delay_alu instid0(VALU_DEP_2) | instskip(NEXT) | instid1(VALU_DEP_2)
	v_fmac_f16_e32 v24, v19, v23
	v_fma_f16 v77, v19, v21, -v22
	ds_load_2addr_b32 v[21:22], v98 offset0:110 offset1:173
	s_wait_dscnt 0x0
	v_lshrrev_b32_e32 v19, 16, v22
	v_mul_f16_e32 v23, v37, v22
	s_delay_alu instid0(VALU_DEP_2) | instskip(NEXT) | instid1(VALU_DEP_2)
	v_mul_f16_e32 v78, v37, v19
	v_fma_f16 v79, v20, v19, -v23
	v_lshrrev_b32_e32 v19, 16, v18
	s_delay_alu instid0(VALU_DEP_3) | instskip(SKIP_1) | instid1(VALU_DEP_3)
	v_fmac_f16_e32 v78, v20, v22
	v_lshrrev_b32_e32 v22, 16, v21
	v_mul_f16_e32 v37, v19, v21
	s_delay_alu instid0(VALU_DEP_2)
	v_mul_f16_e32 v23, v19, v22
	ds_load_2addr_b32 v[19:20], v99 offset0:120 offset1:183
	v_fma_f16 v22, v18, v22, -v37
	v_fmac_f16_e32 v23, v18, v21
	s_wait_dscnt 0x0
	v_lshrrev_b32_e32 v21, 16, v20
	v_mul_f16_e32 v38, v80, v20
	s_delay_alu instid0(VALU_DEP_2) | instskip(NEXT) | instid1(VALU_DEP_2)
	v_mul_f16_e32 v80, v80, v21
	v_fma_f16 v21, v17, v21, -v38
	s_delay_alu instid0(VALU_DEP_2)
	v_fmac_f16_e32 v80, v17, v20
	ds_load_2addr_b32 v[17:18], v116 offset1:63
	v_add_f16_e32 v20, v21, v22
	v_sub_f16_e32 v82, v21, v22
	s_wait_dscnt 0x0
	v_lshrrev_b32_e32 v81, 16, v17
	s_delay_alu instid0(VALU_DEP_1) | instskip(SKIP_2) | instid1(VALU_DEP_3)
	v_add_f16_e32 v37, v81, v21
	v_fmac_f16_e32 v81, -0.5, v20
	v_add_f16_e32 v21, v17, v80
	v_add_f16_e32 v20, v37, v22
	;; [unrolled: 1-line block ×3, first 2 shown]
	s_delay_alu instid0(VALU_DEP_3) | instskip(SKIP_1) | instid1(VALU_DEP_3)
	v_add_f16_e32 v21, v21, v23
	v_sub_f16_e32 v80, v80, v23
	v_fma_f16 v17, -0.5, v22, v17
	s_delay_alu instid0(VALU_DEP_3) | instskip(NEXT) | instid1(VALU_DEP_3)
	v_pack_b32_f16 v83, v21, v20
	v_fmamk_f16 v21, v80, 0x3aee, v81
	v_fmac_f16_e32 v81, 0xbaee, v80
	v_lshrrev_b32_e32 v80, 16, v18
	v_fmamk_f16 v20, v82, 0xbaee, v17
	v_fmac_f16_e32 v17, 0x3aee, v82
	s_delay_alu instid0(VALU_DEP_3) | instskip(NEXT) | instid1(VALU_DEP_3)
	v_add_f16_e32 v82, v80, v77
	v_pack_b32_f16 v84, v20, v21
	ds_load_2addr_b32 v[20:21], v116 offset0:126 offset1:189
	ds_load_2addr_b32 v[22:23], v178 offset0:124 offset1:187
	;; [unrolled: 1-line block ×3, first 2 shown]
	global_wb scope:SCOPE_SE
	s_wait_dscnt 0x0
	s_barrier_signal -1
	s_barrier_wait -1
	global_inv scope:SCOPE_SE
	scratch_load_b32 v85, off, off offset:144 th:TH_LOAD_LU ; 4-byte Folded Reload
	v_pack_b32_f16 v17, v17, v81
	v_add_f16_e32 v81, v18, v24
	s_wait_loadcnt 0x0
	ds_store_b32 v85, v17 offset:216
	v_add_f16_e32 v17, v24, v78
	ds_store_2addr_b32 v85, v83, v84 offset1:27
	v_fmac_f16_e32 v18, -0.5, v17
	v_add_f16_e32 v17, v77, v79
	s_delay_alu instid0(VALU_DEP_1) | instskip(SKIP_1) | instid1(VALU_DEP_1)
	v_fmac_f16_e32 v80, -0.5, v17
	v_sub_f16_e32 v17, v77, v79
	v_fmamk_f16 v77, v17, 0xbaee, v18
	v_fmac_f16_e32 v18, 0x3aee, v17
	v_sub_f16_e32 v17, v24, v78
	s_delay_alu instid0(VALU_DEP_1) | instskip(SKIP_1) | instid1(VALU_DEP_2)
	v_fmamk_f16 v24, v17, 0x3aee, v80
	v_fmac_f16_e32 v80, 0xbaee, v17
	v_pack_b32_f16 v24, v77, v24
	scratch_load_b32 v77, off, off offset:152 th:TH_LOAD_LU ; 4-byte Folded Reload
	v_pack_b32_f16 v17, v18, v80
	v_add_f16_e32 v18, v81, v78
	v_add_f16_e32 v78, v82, v79
	s_delay_alu instid0(VALU_DEP_1)
	v_pack_b32_f16 v18, v18, v78
	v_add_f16_e32 v78, v75, v74
	s_wait_loadcnt 0x0
	ds_store_2addr_b32 v77, v18, v24 offset1:27
	ds_store_b32 v77, v17 offset:216
	v_add_f16_e32 v17, v40, v71
	v_lshrrev_b32_e32 v18, 16, v21
	v_add_f16_e32 v24, v21, v40
	s_delay_alu instid0(VALU_DEP_3) | instskip(SKIP_1) | instid1(VALU_DEP_4)
	v_fmac_f16_e32 v21, -0.5, v17
	v_add_f16_e32 v17, v39, v70
	v_add_f16_e32 v77, v18, v39
	s_delay_alu instid0(VALU_DEP_2) | instskip(SKIP_1) | instid1(VALU_DEP_1)
	v_fmac_f16_e32 v18, -0.5, v17
	v_sub_f16_e32 v17, v39, v70
	v_fmamk_f16 v39, v17, 0xbaee, v21
	v_fmac_f16_e32 v21, 0x3aee, v17
	v_sub_f16_e32 v17, v40, v71
	s_delay_alu instid0(VALU_DEP_1) | instskip(SKIP_2) | instid1(VALU_DEP_2)
	v_fmamk_f16 v40, v17, 0x3aee, v18
	v_fmac_f16_e32 v18, 0xbaee, v17
	v_add_f16_e32 v17, v76, v73
	v_pack_b32_f16 v18, v21, v18
	v_lshrrev_b32_e32 v21, 16, v20
	s_delay_alu instid0(VALU_DEP_3) | instskip(SKIP_1) | instid1(VALU_DEP_3)
	v_fma_f16 v17, -0.5, v17, v20
	v_add_f16_e32 v20, v20, v76
	v_add_f16_e32 v79, v21, v75
	v_fmac_f16_e32 v21, -0.5, v78
	v_sub_f16_e32 v75, v75, v74
	s_delay_alu instid0(VALU_DEP_4) | instskip(SKIP_2) | instid1(VALU_DEP_2)
	v_add_f16_e32 v20, v20, v73
	v_sub_f16_e32 v73, v76, v73
	v_add_f16_e32 v74, v79, v74
	v_fmamk_f16 v76, v73, 0x3aee, v21
	s_delay_alu instid0(VALU_DEP_2) | instskip(SKIP_3) | instid1(VALU_DEP_3)
	v_pack_b32_f16 v20, v20, v74
	v_fmamk_f16 v74, v75, 0xbaee, v17
	v_fmac_f16_e32 v17, 0x3aee, v75
	v_fmac_f16_e32 v21, 0xbaee, v73
	v_pack_b32_f16 v74, v74, v76
	scratch_load_b32 v76, off, off offset:148 th:TH_LOAD_LU ; 4-byte Folded Reload
	v_pack_b32_f16 v17, v17, v21
	scratch_load_b32 v21, off, off offset:160 th:TH_LOAD_LU ; 4-byte Folded Reload
	s_wait_loadcnt 0x1
	ds_store_2addr_b32 v76, v20, v74 offset1:27
	ds_store_b32 v76, v17 offset:216
	v_add_f16_e32 v17, v24, v71
	v_add_f16_e32 v20, v77, v70
	s_delay_alu instid0(VALU_DEP_1)
	v_pack_b32_f16 v17, v17, v20
	v_pack_b32_f16 v20, v39, v40
	s_wait_loadcnt 0x0
	ds_store_2addr_b32 v21, v17, v20 offset1:27
	ds_store_b32 v21, v18 offset:216
	v_add_f16_e32 v17, v61, v67
	v_lshrrev_b32_e32 v18, 16, v23
	v_add_f16_e32 v20, v23, v61
	v_add_f16_e32 v40, v43, v44
	s_delay_alu instid0(VALU_DEP_4) | instskip(SKIP_2) | instid1(VALU_DEP_2)
	v_fmac_f16_e32 v23, -0.5, v17
	v_add_f16_e32 v17, v60, v65
	v_add_f16_e32 v21, v18, v60
	v_fmac_f16_e32 v18, -0.5, v17
	v_sub_f16_e32 v17, v60, v65
	s_delay_alu instid0(VALU_DEP_1) | instskip(SKIP_2) | instid1(VALU_DEP_1)
	v_fmamk_f16 v24, v17, 0xbaee, v23
	v_fmac_f16_e32 v23, 0x3aee, v17
	v_sub_f16_e32 v17, v61, v67
	v_fmamk_f16 v39, v17, 0x3aee, v18
	v_fmac_f16_e32 v18, 0xbaee, v17
	v_add_f16_e32 v17, v72, v69
	s_delay_alu instid0(VALU_DEP_2) | instskip(SKIP_1) | instid1(VALU_DEP_3)
	v_pack_b32_f16 v18, v23, v18
	v_lshrrev_b32_e32 v23, 16, v22
	v_fma_f16 v17, -0.5, v17, v22
	v_add_f16_e32 v22, v22, v72
	s_delay_alu instid0(VALU_DEP_3) | instskip(SKIP_2) | instid1(VALU_DEP_4)
	v_add_f16_e32 v60, v23, v43
	v_fmac_f16_e32 v23, -0.5, v40
	v_sub_f16_e32 v40, v43, v44
	v_add_f16_e32 v22, v22, v69
	s_delay_alu instid0(VALU_DEP_4) | instskip(SKIP_1) | instid1(VALU_DEP_2)
	v_add_f16_e32 v43, v60, v44
	v_sub_f16_e32 v44, v72, v69
	v_pack_b32_f16 v22, v22, v43
	v_fmamk_f16 v43, v40, 0xbaee, v17
	s_delay_alu instid0(VALU_DEP_3) | instskip(SKIP_2) | instid1(VALU_DEP_3)
	v_fmamk_f16 v60, v44, 0x3aee, v23
	v_fmac_f16_e32 v17, 0x3aee, v40
	v_fmac_f16_e32 v23, 0xbaee, v44
	v_pack_b32_f16 v43, v43, v60
	scratch_load_b32 v60, off, off offset:156 th:TH_LOAD_LU ; 4-byte Folded Reload
	v_pack_b32_f16 v17, v17, v23
	v_sub_f16_e32 v23, v68, v64
	s_wait_loadcnt 0x0
	ds_store_b32 v60, v17 offset:216
	v_add_f16_e32 v17, v20, v67
	v_add_f16_e32 v20, v21, v65
	scratch_load_b32 v21, off, off offset:172 th:TH_LOAD_LU ; 4-byte Folded Reload
	ds_store_2addr_b32 v60, v22, v43 offset1:27
	v_add_f16_e32 v22, v68, v64
	v_add_f16_e32 v43, v19, v58
	v_pack_b32_f16 v17, v17, v20
	v_pack_b32_f16 v20, v24, v39
	s_wait_loadcnt 0x0
	ds_store_2addr_b32 v21, v17, v20 offset1:27
	ds_store_b32 v21, v18 offset:216
	scratch_load_b32 v60, off, off offset:164 th:TH_LOAD_LU ; 4-byte Folded Reload
	v_lshrrev_b32_e32 v17, 16, v37
	v_add_f16_e32 v21, v37, v68
	v_add_f16_e32 v18, v66, v46
	s_delay_alu instid0(VALU_DEP_3) | instskip(NEXT) | instid1(VALU_DEP_3)
	v_add_f16_e32 v20, v17, v66
	v_add_f16_e32 v21, v21, v64
	s_delay_alu instid0(VALU_DEP_3) | instskip(SKIP_1) | instid1(VALU_DEP_4)
	v_fmac_f16_e32 v17, -0.5, v18
	v_sub_f16_e32 v18, v66, v46
	v_add_f16_e32 v20, v20, v46
	s_delay_alu instid0(VALU_DEP_3) | instskip(SKIP_1) | instid1(VALU_DEP_3)
	v_fmamk_f16 v24, v23, 0x3aee, v17
	v_fmac_f16_e32 v17, 0xbaee, v23
	v_pack_b32_f16 v20, v21, v20
	v_fma_f16 v21, -0.5, v22, v37
	s_delay_alu instid0(VALU_DEP_1) | instskip(SKIP_1) | instid1(VALU_DEP_2)
	v_fmamk_f16 v22, v18, 0xbaee, v21
	v_fmac_f16_e32 v21, 0x3aee, v18
	v_pack_b32_f16 v22, v22, v24
	s_delay_alu instid0(VALU_DEP_2)
	v_pack_b32_f16 v17, v21, v17
	scratch_load_b32 v21, off, off offset:184 th:TH_LOAD_LU ; 4-byte Folded Reload
	v_add_f16_e32 v24, v38, v62
	s_wait_loadcnt 0x1
	ds_store_2addr_b32 v60, v20, v22 offset1:27
	v_add_f16_e32 v20, v62, v45
	v_lshrrev_b32_e32 v22, 16, v38
	ds_store_b32 v60, v17 offset:216
	v_add_f16_e32 v17, v24, v45
	v_fmac_f16_e32 v38, -0.5, v20
	v_add_f16_e32 v20, v63, v49
	v_add_f16_e32 v37, v22, v63
	s_delay_alu instid0(VALU_DEP_2) | instskip(SKIP_1) | instid1(VALU_DEP_3)
	v_fmac_f16_e32 v22, -0.5, v20
	v_sub_f16_e32 v20, v63, v49
	v_add_f16_e32 v18, v37, v49
	s_delay_alu instid0(VALU_DEP_2) | instskip(SKIP_2) | instid1(VALU_DEP_4)
	v_fmamk_f16 v39, v20, 0xbaee, v38
	v_fmac_f16_e32 v38, 0x3aee, v20
	v_sub_f16_e32 v20, v62, v45
	v_pack_b32_f16 v17, v17, v18
	v_lshrrev_b32_e32 v62, 16, v29
	s_delay_alu instid0(VALU_DEP_3) | instskip(SKIP_1) | instid1(VALU_DEP_2)
	v_fmamk_f16 v40, v20, 0x3aee, v22
	v_fmac_f16_e32 v22, 0xbaee, v20
	v_pack_b32_f16 v18, v39, v40
	s_delay_alu instid0(VALU_DEP_2)
	v_pack_b32_f16 v20, v38, v22
	s_wait_loadcnt 0x0
	ds_store_2addr_b32 v21, v17, v18 offset1:27
	ds_store_b32 v21, v20 offset:216
	scratch_load_b32 v20, off, off offset:200 th:TH_LOAD_LU ; 4-byte Folded Reload
	v_add_f16_e32 v22, v58, v57
	v_lshrrev_b32_e32 v38, 16, v19
	v_add_f16_e32 v17, v43, v57
	s_delay_alu instid0(VALU_DEP_3) | instskip(SKIP_1) | instid1(VALU_DEP_4)
	v_fmac_f16_e32 v19, -0.5, v22
	v_add_f16_e32 v22, v59, v50
	v_add_f16_e32 v44, v38, v59
	s_delay_alu instid0(VALU_DEP_2) | instskip(SKIP_1) | instid1(VALU_DEP_3)
	v_fmac_f16_e32 v38, -0.5, v22
	v_sub_f16_e32 v22, v59, v50
	v_add_f16_e32 v18, v44, v50
	s_delay_alu instid0(VALU_DEP_2) | instskip(SKIP_2) | instid1(VALU_DEP_4)
	v_fmamk_f16 v46, v22, 0xbaee, v19
	v_fmac_f16_e32 v19, 0x3aee, v22
	v_sub_f16_e32 v22, v58, v57
	v_pack_b32_f16 v17, v17, v18
	s_delay_alu instid0(VALU_DEP_2) | instskip(SKIP_1) | instid1(VALU_DEP_2)
	v_fmamk_f16 v58, v22, 0x3aee, v38
	v_fmac_f16_e32 v38, 0xbaee, v22
	v_pack_b32_f16 v18, v46, v58
	s_delay_alu instid0(VALU_DEP_2)
	v_pack_b32_f16 v19, v19, v38
	s_wait_loadcnt 0x0
	ds_store_2addr_b32 v20, v17, v18 offset1:27
	ds_store_b32 v20, v19 offset:216
	global_wb scope:SCOPE_SE
	s_wait_dscnt 0x0
	s_barrier_signal -1
	s_barrier_wait -1
	global_inv scope:SCOPE_SE
	ds_load_2addr_b32 v[17:18], v173 offset0:112 offset1:175
	v_lshrrev_b32_e32 v58, 16, v33
	s_wait_dscnt 0x0
	v_lshrrev_b32_e32 v19, 16, v18
	v_mul_f16_e64 v20, v250, v18
	s_delay_alu instid0(VALU_DEP_2) | instskip(NEXT) | instid1(VALU_DEP_2)
	v_mul_f16_e64 v22, v250, v19
	v_fma_f16 v37, v55, v19, -v20
	ds_load_b32 v19, v116 offset:6552
	v_fmac_f16_e32 v22, v55, v18
	v_lshrrev_b32_e32 v18, 16, v17
	s_wait_dscnt 0x0
	v_lshrrev_b32_e32 v20, 16, v19
	v_mul_f16_e64 v21, v248, v19
	s_delay_alu instid0(VALU_DEP_2) | instskip(NEXT) | instid1(VALU_DEP_2)
	v_mul_f16_e64 v23, v248, v20
	v_fma_f16 v38, v56, v20, -v21
	v_mul_f16_e64 v20, v241, v18
	s_delay_alu instid0(VALU_DEP_3) | instskip(SKIP_1) | instid1(VALU_DEP_3)
	v_fmac_f16_e32 v23, v56, v19
	v_mul_f16_e64 v19, v241, v17
	v_fmac_f16_e32 v20, v53, v17
	s_delay_alu instid0(VALU_DEP_2)
	v_fma_f16 v21, v53, v18, -v19
	ds_load_2addr_b32 v[17:18], v134 offset0:104 offset1:167
	s_wait_dscnt 0x0
	v_lshrrev_b32_e32 v19, 16, v18
	v_mul_f16_e64 v24, v239, v18
	v_mul_f16_e64 v43, v236, v17
	s_delay_alu instid0(VALU_DEP_3) | instskip(NEXT) | instid1(VALU_DEP_3)
	v_mul_f16_e64 v39, v239, v19
	v_fma_f16 v24, v54, v19, -v24
	v_lshrrev_b32_e32 v19, 16, v17
	s_delay_alu instid0(VALU_DEP_3) | instskip(NEXT) | instid1(VALU_DEP_2)
	v_fmac_f16_e32 v39, v54, v18
	v_mul_f16_e64 v40, v236, v19
	v_fma_f16 v43, v52, v19, -v43
	s_delay_alu instid0(VALU_DEP_2)
	v_fmac_f16_e32 v40, v52, v17
	ds_load_2addr_b32 v[17:18], v100 offset0:114 offset1:177
	s_wait_dscnt 0x0
	v_lshrrev_b32_e32 v44, 16, v18
	v_mul_f16_e64 v45, v234, v18
	v_mul_f16_e64 v19, v230, v17
	s_delay_alu instid0(VALU_DEP_3) | instskip(NEXT) | instid1(VALU_DEP_3)
	v_mul_f16_e64 v46, v234, v44
	v_fma_f16 v44, v51, v44, -v45
	s_delay_alu instid0(VALU_DEP_2) | instskip(SKIP_1) | instid1(VALU_DEP_1)
	v_fmac_f16_e32 v46, v51, v18
	v_lshrrev_b32_e32 v18, 16, v17
	v_mul_f16_e64 v45, v230, v18
	s_delay_alu instid0(VALU_DEP_1)
	v_fmac_f16_e32 v45, v47, v17
	v_fma_f16 v47, v47, v18, -v19
	ds_load_2addr_b32 v[17:18], v105 offset0:106 offset1:169
	s_wait_dscnt 0x0
	v_lshrrev_b32_e32 v19, 16, v18
	v_mul_f16_e64 v49, v227, v18
	v_mul_f16_e64 v51, v223, v17
	s_delay_alu instid0(VALU_DEP_3) | instskip(NEXT) | instid1(VALU_DEP_3)
	v_mul_f16_e64 v50, v227, v19
	v_fma_f16 v49, v48, v19, -v49
	v_lshrrev_b32_e32 v19, 16, v17
	s_delay_alu instid0(VALU_DEP_3) | instskip(NEXT) | instid1(VALU_DEP_2)
	v_fmac_f16_e32 v50, v48, v18
	v_mul_f16_e64 v48, v223, v19
	s_delay_alu instid0(VALU_DEP_1)
	v_fmac_f16_e32 v48, v42, v17
	ds_load_2addr_b32 v[17:18], v179 offset0:116 offset1:179
	v_fma_f16 v42, v42, v19, -v51
	s_wait_dscnt 0x0
	v_lshrrev_b32_e32 v52, 16, v18
	v_mul_f16_e64 v53, v222, v18
	v_mul_f16_e64 v19, v219, v17
	s_delay_alu instid0(VALU_DEP_3) | instskip(NEXT) | instid1(VALU_DEP_3)
	v_mul_f16_e64 v54, v222, v52
	v_fma_f16 v52, v41, v52, -v53
	v_lshrrev_b32_e32 v53, 16, v36
	s_delay_alu instid0(VALU_DEP_3) | instskip(SKIP_1) | instid1(VALU_DEP_1)
	v_fmac_f16_e32 v54, v41, v18
	v_lshrrev_b32_e32 v18, 16, v17
	v_mul_f16_e64 v41, v219, v18
	s_delay_alu instid0(VALU_DEP_1)
	v_fmac_f16_e32 v41, v35, v17
	v_fma_f16 v35, v35, v18, -v19
	ds_load_2addr_b32 v[17:18], v177 offset0:108 offset1:171
	s_wait_dscnt 0x0
	v_lshrrev_b32_e32 v19, 16, v18
	v_mul_f16_e32 v51, v53, v18
	s_delay_alu instid0(VALU_DEP_2) | instskip(NEXT) | instid1(VALU_DEP_2)
	v_mul_f16_e32 v53, v53, v19
	v_fma_f16 v51, v36, v19, -v51
	v_lshrrev_b32_e32 v19, 16, v17
	s_delay_alu instid0(VALU_DEP_3) | instskip(SKIP_1) | instid1(VALU_DEP_1)
	v_fmac_f16_e32 v53, v36, v18
	v_lshrrev_b32_e32 v18, 16, v34
	v_mul_f16_e32 v36, v18, v19
	v_mul_f16_e32 v55, v18, v17
	s_delay_alu instid0(VALU_DEP_2)
	v_fmac_f16_e32 v36, v34, v17
	ds_load_2addr_b32 v[17:18], v101 offset0:118 offset1:181
	v_fma_f16 v55, v34, v19, -v55
	v_lshrrev_b32_e32 v19, 16, v31
	s_wait_dscnt 0x0
	v_lshrrev_b32_e32 v56, 16, v18
	v_mul_f16_e32 v57, v58, v18
	s_delay_alu instid0(VALU_DEP_2) | instskip(NEXT) | instid1(VALU_DEP_2)
	v_mul_f16_e32 v58, v58, v56
	v_fma_f16 v56, v33, v56, -v57
	s_delay_alu instid0(VALU_DEP_2) | instskip(SKIP_2) | instid1(VALU_DEP_2)
	v_fmac_f16_e32 v58, v33, v18
	v_lshrrev_b32_e32 v18, 16, v17
	v_lshrrev_b32_e32 v33, 16, v32
	v_mul_f16_e32 v57, v19, v18
	v_mul_f16_e32 v19, v19, v17
	s_delay_alu instid0(VALU_DEP_2) | instskip(NEXT) | instid1(VALU_DEP_2)
	v_fmac_f16_e32 v57, v31, v17
	v_fma_f16 v59, v31, v18, -v19
	ds_load_2addr_b32 v[17:18], v98 offset0:110 offset1:173
	s_wait_dscnt 0x0
	v_lshrrev_b32_e32 v19, 16, v18
	v_mul_f16_e32 v31, v33, v18
	s_delay_alu instid0(VALU_DEP_2) | instskip(NEXT) | instid1(VALU_DEP_2)
	v_mul_f16_e32 v60, v33, v19
	v_fma_f16 v61, v32, v19, -v31
	v_lshrrev_b32_e32 v19, 16, v17
	s_delay_alu instid0(VALU_DEP_3) | instskip(SKIP_1) | instid1(VALU_DEP_1)
	v_fmac_f16_e32 v60, v32, v18
	v_lshrrev_b32_e32 v18, 16, v30
	v_mul_f16_e32 v31, v18, v19
	v_mul_f16_e32 v32, v18, v17
	s_delay_alu instid0(VALU_DEP_2)
	v_fmac_f16_e32 v31, v30, v17
	ds_load_2addr_b32 v[17:18], v99 offset0:120 offset1:183
	v_fma_f16 v19, v30, v19, -v32
	s_wait_dscnt 0x0
	v_lshrrev_b32_e32 v33, 16, v18
	v_mul_f16_e32 v34, v62, v18
	s_delay_alu instid0(VALU_DEP_2) | instskip(NEXT) | instid1(VALU_DEP_2)
	v_mul_f16_e32 v62, v62, v33
	v_fma_f16 v33, v29, v33, -v34
	s_delay_alu instid0(VALU_DEP_2)
	v_fmac_f16_e32 v62, v29, v18
	ds_load_2addr_b32 v[29:30], v116 offset1:63
	v_add_f16_e32 v18, v33, v19
	v_sub_f16_e32 v64, v33, v19
	s_wait_dscnt 0x0
	v_lshrrev_b32_e32 v63, 16, v29
	v_add_f16_e32 v67, v30, v57
	s_delay_alu instid0(VALU_DEP_2) | instskip(SKIP_1) | instid1(VALU_DEP_2)
	v_add_f16_e32 v32, v63, v33
	v_fmac_f16_e32 v63, -0.5, v18
	v_add_f16_e32 v18, v32, v19
	v_add_f16_e32 v19, v29, v62
	;; [unrolled: 1-line block ×3, first 2 shown]
	v_sub_f16_e32 v62, v62, v31
	s_delay_alu instid0(VALU_DEP_3) | instskip(NEXT) | instid1(VALU_DEP_3)
	v_add_f16_e32 v19, v19, v31
	v_fma_f16 v29, -0.5, v32, v29
	s_delay_alu instid0(VALU_DEP_2) | instskip(NEXT) | instid1(VALU_DEP_2)
	v_pack_b32_f16 v65, v19, v18
	v_fmamk_f16 v18, v64, 0xbaee, v29
	v_fmamk_f16 v19, v62, 0x3aee, v63
	v_fmac_f16_e32 v29, 0x3aee, v64
	v_fmac_f16_e32 v63, 0xbaee, v62
	s_delay_alu instid0(VALU_DEP_3)
	v_pack_b32_f16 v66, v18, v19
	ds_load_2addr_b32 v[31:32], v178 offset0:124 offset1:187
	ds_load_2addr_b32 v[33:34], v116 offset0:126 offset1:189
	ds_load_2addr_b32 v[18:19], v97 offset0:122 offset1:185
	v_pack_b32_f16 v29, v29, v63
	global_wb scope:SCOPE_SE
	s_wait_dscnt 0x0
	s_barrier_signal -1
	s_barrier_wait -1
	global_inv scope:SCOPE_SE
	ds_store_b32 v116, v29 offset:648
	scratch_load_b32 v29, off, off offset:140 th:TH_LOAD_LU ; 4-byte Folded Reload
	ds_store_2addr_b32 v116, v65, v66 offset1:81
	v_add_f16_e32 v65, v57, v60
	v_lshrrev_b32_e32 v66, 16, v30
	v_sub_f16_e32 v57, v57, v60
	s_delay_alu instid0(VALU_DEP_3) | instskip(SKIP_1) | instid1(VALU_DEP_4)
	v_fmac_f16_e32 v30, -0.5, v65
	v_add_f16_e32 v65, v59, v61
	v_add_f16_e32 v68, v66, v59
	v_sub_f16_e32 v59, v59, v61
	s_delay_alu instid0(VALU_DEP_3) | instskip(NEXT) | instid1(VALU_DEP_2)
	v_fmac_f16_e32 v66, -0.5, v65
	v_fmamk_f16 v65, v59, 0xbaee, v30
	v_fmac_f16_e32 v30, 0x3aee, v59
	s_delay_alu instid0(VALU_DEP_3) | instskip(SKIP_3) | instid1(VALU_DEP_4)
	v_fmamk_f16 v59, v57, 0x3aee, v66
	v_fmac_f16_e32 v66, 0xbaee, v57
	v_add_f16_e32 v57, v67, v60
	v_add_f16_e32 v60, v68, v61
	v_pack_b32_f16 v59, v65, v59
	s_delay_alu instid0(VALU_DEP_4) | instskip(NEXT) | instid1(VALU_DEP_3)
	v_pack_b32_f16 v30, v30, v66
	v_pack_b32_f16 v57, v57, v60
	s_wait_loadcnt 0x0
	ds_store_2addr_b32 v29, v57, v59 offset1:81
	ds_store_b32 v29, v30 offset:648
	v_add_f16_e32 v29, v41, v53
	v_lshrrev_b32_e32 v30, 16, v34
	v_add_f16_e32 v57, v34, v41
	v_add_f16_e32 v60, v56, v55
	s_delay_alu instid0(VALU_DEP_4) | instskip(SKIP_2) | instid1(VALU_DEP_2)
	v_fmac_f16_e32 v34, -0.5, v29
	v_add_f16_e32 v29, v35, v51
	v_add_f16_e32 v59, v30, v35
	v_fmac_f16_e32 v30, -0.5, v29
	v_sub_f16_e32 v29, v35, v51
	s_delay_alu instid0(VALU_DEP_1) | instskip(SKIP_2) | instid1(VALU_DEP_1)
	v_fmamk_f16 v35, v29, 0xbaee, v34
	v_fmac_f16_e32 v34, 0x3aee, v29
	v_sub_f16_e32 v29, v41, v53
	v_fmamk_f16 v41, v29, 0x3aee, v30
	v_fmac_f16_e32 v30, 0xbaee, v29
	v_add_f16_e32 v29, v58, v36
	s_delay_alu instid0(VALU_DEP_2) | instskip(SKIP_1) | instid1(VALU_DEP_3)
	v_pack_b32_f16 v30, v34, v30
	v_lshrrev_b32_e32 v34, 16, v33
	v_fma_f16 v29, -0.5, v29, v33
	v_add_f16_e32 v33, v33, v58
	s_delay_alu instid0(VALU_DEP_3) | instskip(SKIP_2) | instid1(VALU_DEP_4)
	v_add_f16_e32 v61, v34, v56
	v_fmac_f16_e32 v34, -0.5, v60
	v_sub_f16_e32 v56, v56, v55
	v_add_f16_e32 v33, v33, v36
	v_sub_f16_e32 v36, v58, v36
	v_add_f16_e32 v55, v61, v55
	s_delay_alu instid0(VALU_DEP_2) | instskip(NEXT) | instid1(VALU_DEP_2)
	v_fmamk_f16 v58, v36, 0x3aee, v34
	v_pack_b32_f16 v33, v33, v55
	v_fmamk_f16 v55, v56, 0xbaee, v29
	v_fmac_f16_e32 v29, 0x3aee, v56
	v_fmac_f16_e32 v34, 0xbaee, v36
	s_delay_alu instid0(VALU_DEP_3)
	v_pack_b32_f16 v55, v55, v58
	scratch_load_b32 v58, off, off offset:176 th:TH_LOAD_LU ; 4-byte Folded Reload
	v_pack_b32_f16 v29, v29, v34
	scratch_load_b32 v34, off, off offset:192 th:TH_LOAD_LU ; 4-byte Folded Reload
	s_wait_loadcnt 0x1
	ds_store_2addr_b32 v58, v33, v55 offset1:81
	ds_store_b32 v58, v29 offset:648
	v_add_f16_e32 v29, v57, v53
	v_add_f16_e32 v33, v59, v51
	s_wait_loadcnt 0x0
	ds_store_b32 v34, v30 offset:648
	v_add_f16_e32 v30, v52, v42
	v_pack_b32_f16 v29, v29, v33
	v_pack_b32_f16 v33, v35, v41
	v_add_f16_e32 v35, v54, v48
	v_lshrrev_b32_e32 v41, 16, v32
	ds_store_2addr_b32 v34, v29, v33 offset1:81
	v_lshrrev_b32_e32 v29, 16, v31
	v_add_f16_e32 v34, v31, v54
	v_fma_f16 v31, -0.5, v35, v31
	v_sub_f16_e32 v35, v54, v48
	s_delay_alu instid0(VALU_DEP_4)
	v_add_f16_e32 v33, v29, v52
	v_fmac_f16_e32 v29, -0.5, v30
	v_sub_f16_e32 v30, v52, v42
	v_add_f16_e32 v34, v34, v48
	v_add_f16_e32 v48, v41, v47
	;; [unrolled: 1-line block ×3, first 2 shown]
	v_fmamk_f16 v36, v35, 0x3aee, v29
	v_fmac_f16_e32 v29, 0xbaee, v35
	v_add_f16_e32 v42, v32, v45
	s_delay_alu instid0(VALU_DEP_4) | instskip(SKIP_3) | instid1(VALU_DEP_3)
	v_pack_b32_f16 v33, v34, v33
	v_fmamk_f16 v34, v30, 0xbaee, v31
	v_fmac_f16_e32 v31, 0x3aee, v30
	v_sub_f16_e32 v30, v45, v50
	v_pack_b32_f16 v34, v34, v36
	s_delay_alu instid0(VALU_DEP_3) | instskip(SKIP_2) | instid1(VALU_DEP_1)
	v_pack_b32_f16 v29, v31, v29
	scratch_load_b32 v31, off, off offset:188 th:TH_LOAD_LU ; 4-byte Folded Reload
	v_add_f16_e32 v36, v45, v50
	v_fmac_f16_e32 v32, -0.5, v36
	v_add_f16_e32 v36, v47, v49
	s_delay_alu instid0(VALU_DEP_1) | instskip(SKIP_1) | instid1(VALU_DEP_2)
	v_fmac_f16_e32 v41, -0.5, v36
	v_sub_f16_e32 v36, v47, v49
	v_fmamk_f16 v35, v30, 0x3aee, v41
	s_delay_alu instid0(VALU_DEP_2) | instskip(SKIP_3) | instid1(VALU_DEP_1)
	v_fmamk_f16 v47, v36, 0xbaee, v32
	v_fmac_f16_e32 v32, 0x3aee, v36
	v_fmac_f16_e32 v41, 0xbaee, v30
	v_add_f16_e32 v36, v18, v46
	v_add_f16_e32 v36, v36, v40
	s_wait_loadcnt 0x0
	v_add_nc_u32_e32 v30, 0xa00, v31
	ds_store_b32 v31, v29 offset:3564
	v_add_f16_e32 v31, v46, v40
	v_add_f16_e32 v29, v42, v50
	v_lshrrev_b32_e32 v50, 16, v17
	ds_store_2addr_b32 v30, v33, v34 offset0:89 offset1:170
	v_pack_b32_f16 v30, v32, v41
	v_lshrrev_b32_e32 v32, 16, v18
	v_add_f16_e32 v34, v44, v43
	v_fma_f16 v31, -0.5, v31, v18
	v_sub_f16_e32 v18, v44, v43
	v_add_f16_e32 v33, v48, v49
	v_add_f16_e32 v41, v32, v44
	v_fmac_f16_e32 v32, -0.5, v34
	v_sub_f16_e32 v34, v46, v40
	v_fmamk_f16 v40, v18, 0xbaee, v31
	v_fmac_f16_e32 v31, 0x3aee, v18
	v_add_f16_e32 v18, v20, v39
	v_add_f16_e32 v41, v41, v43
	v_fmamk_f16 v42, v34, 0x3aee, v32
	v_fmac_f16_e32 v32, 0xbaee, v34
	v_lshrrev_b32_e32 v49, 16, v19
	v_add_f16_e32 v34, v21, v24
	v_add_f16_e32 v43, v19, v20
	v_fmac_f16_e32 v19, -0.5, v18
	v_sub_f16_e32 v18, v21, v24
	v_add_f16_e32 v44, v49, v21
	v_fmac_f16_e32 v49, -0.5, v34
	v_sub_f16_e32 v34, v20, v39
	v_add_f16_e32 v20, v43, v39
	v_fmamk_f16 v21, v18, 0xbaee, v19
	v_add_f16_e32 v39, v22, v23
	v_fmac_f16_e32 v19, 0x3aee, v18
	v_add_f16_e32 v18, v37, v38
	v_add_f16_e32 v43, v17, v22
	v_sub_f16_e32 v22, v22, v23
	v_fmac_f16_e32 v17, -0.5, v39
	v_sub_f16_e32 v39, v37, v38
	v_add_f16_e32 v37, v50, v37
	v_fmac_f16_e32 v50, -0.5, v18
	v_pack_b32_f16 v29, v29, v33
	v_pack_b32_f16 v33, v47, v35
	v_fmamk_f16 v52, v34, 0x3aee, v49
	v_fmac_f16_e32 v49, 0xbaee, v34
	v_fmamk_f16 v51, v22, 0x3aee, v50
	v_fmac_f16_e32 v50, 0xbaee, v22
	scratch_load_b32 v22, off, off offset:168 th:TH_LOAD_LU ; 4-byte Folded Reload
	s_wait_loadcnt 0x0
	ds_store_2addr_b32 v22, v29, v33 offset1:81
	ds_store_b32 v22, v30 offset:648
	v_pack_b32_f16 v34, v36, v41
	scratch_load_b32 v36, off, off offset:180 th:TH_LOAD_LU ; 4-byte Folded Reload
	v_pack_b32_f16 v22, v31, v32
	v_add_f16_e32 v53, v37, v38
	scratch_load_b32 v37, off, off offset:204 th:TH_LOAD_LU ; 4-byte Folded Reload
	v_add_f16_e32 v24, v44, v24
	v_fmamk_f16 v18, v39, 0xbaee, v17
	v_pack_b32_f16 v35, v40, v42
	v_add_f16_e32 v23, v43, v23
	v_fmac_f16_e32 v17, 0x3aee, v39
	v_pack_b32_f16 v29, v20, v24
	v_pack_b32_f16 v30, v21, v52
	;; [unrolled: 1-line block ×5, first 2 shown]
	s_wait_loadcnt 0x1
	ds_store_b32 v36, v22 offset:648
	scratch_load_b32 v22, off, off offset:196 th:TH_LOAD_LU ; 4-byte Folded Reload
	ds_store_2addr_b32 v36, v34, v35 offset1:81
	s_wait_loadcnt 0x1
	v_add_nc_u32_e32 v34, 0x1600, v37
	v_pack_b32_f16 v35, v17, v50
	s_wait_loadcnt 0x0
	ds_store_2addr_b32 v22, v29, v30 offset1:81
	ds_store_b32 v22, v31 offset:648
	ds_store_2addr_b32 v34, v32, v33 offset0:50 offset1:131
	ds_store_b32 v37, v35 offset:6480
	global_wb scope:SCOPE_SE
	s_wait_dscnt 0x0
	s_barrier_signal -1
	s_barrier_wait -1
	global_inv scope:SCOPE_SE
	ds_load_2addr_b32 v[31:32], v116 offset1:63
	ds_load_2addr_b32 v[29:30], v116 offset0:126 offset1:243
	ds_load_2addr_b32 v[47:48], v99 offset0:102 offset1:165
	;; [unrolled: 1-line block ×7, first 2 shown]
	ds_load_b32 v54, v116 offset:6336
	ds_load_2addr_b32 v[43:44], v97 offset0:50 offset1:113
	ds_load_2addr_b32 v[33:34], v177 offset0:126 offset1:189
	s_and_saveexec_b32 s0, vcc_lo
	s_cbranch_execz .LBB0_7
; %bb.6:
	v_add_nc_u32_e32 v17, 0x2e0, v116
	ds_load_2addr_b32 v[18:19], v177 offset0:9 offset1:252
	v_add_nc_u32_e32 v22, 0xa80, v116
	ds_load_b32 v102, v116 offset:6588
	ds_load_2addr_b32 v[20:21], v17 offset0:5 offset1:248
	ds_load_2addr_b32 v[22:23], v22 offset0:3 offset1:246
	s_wait_dscnt 0x3
	v_mov_b32_e32 v17, v19
	v_lshrrev_b32_e32 v51, 16, v18
	v_lshrrev_b32_e32 v50, 16, v19
	s_wait_dscnt 0x2
	v_lshrrev_b32_e32 v103, 16, v102
	s_wait_dscnt 0x1
	v_lshrrev_b32_e32 v24, 16, v20
	v_lshrrev_b32_e32 v52, 16, v21
	s_wait_dscnt 0x0
	v_lshrrev_b32_e32 v49, 16, v22
	v_lshrrev_b32_e32 v53, 16, v23
	v_mov_b32_e32 v19, v22
.LBB0_7:
	s_wait_alu 0xfffe
	s_or_b32 exec_lo, exec_lo, s0
	s_wait_dscnt 0x9
	v_lshrrev_b32_e32 v55, 16, v30
	v_lshrrev_b32_e32 v76, 16, v0
	s_wait_dscnt 0x8
	v_lshrrev_b32_e32 v56, 16, v47
	s_wait_dscnt 0x7
	v_lshrrev_b32_e32 v57, 16, v38
	v_lshrrev_b32_e32 v77, 16, v1
	s_wait_dscnt 0x5
	v_lshrrev_b32_e32 v59, 16, v36
	v_mul_f16_e32 v71, v76, v55
	v_mul_f16_e64 v79, v237, v38
	v_mul_f16_e64 v78, v237, v57
	v_lshrrev_b32_e32 v58, 16, v45
	s_wait_dscnt 0x4
	v_lshrrev_b32_e32 v60, 16, v41
	v_fmac_f16_e32 v71, v0, v30
	v_mul_f16_e32 v30, v76, v30
	v_mul_f16_e32 v76, v77, v56
	;; [unrolled: 1-line block ×3, first 2 shown]
	v_fmac_f16_e32 v78, v2, v38
	v_fma_f16 v2, v2, v57, -v79
	v_fma_f16 v0, v0, v55, -v30
	v_fmac_f16_e32 v76, v1, v47
	v_lshrrev_b32_e32 v38, 16, v3
	v_mul_f16_e64 v47, v235, v59
	v_mul_f16_e64 v55, v235, v36
	v_lshrrev_b32_e32 v57, 16, v26
	s_wait_dscnt 0x1
	v_lshrrev_b32_e32 v62, 16, v43
	v_lshrrev_b32_e32 v63, 16, v48
	v_fma_f16 v1, v1, v56, -v77
	v_mul_f16_e32 v30, v38, v58
	v_mul_f16_e32 v38, v38, v45
	;; [unrolled: 1-line block ×3, first 2 shown]
	v_fmac_f16_e32 v47, v25, v36
	v_fma_f16 v25, v25, v59, -v55
	v_lshrrev_b32_e32 v55, 16, v5
	v_lshrrev_b32_e32 v64, 16, v39
	v_fmac_f16_e32 v30, v3, v45
	v_fma_f16 v3, v3, v58, -v38
	v_fmac_f16_e32 v56, v26, v41
	v_mul_f16_e32 v36, v57, v41
	v_mul_f16_e64 v38, v244, v62
	v_mul_f16_e64 v41, v244, v43
	v_mul_f16_e32 v45, v55, v63
	v_lshrrev_b32_e32 v65, 16, v46
	s_wait_dscnt 0x0
	v_lshrrev_b32_e32 v66, 16, v33
	v_mul_f16_e32 v55, v55, v48
	v_fma_f16 v26, v26, v60, -v36
	v_fmac_f16_e32 v38, v4, v43
	v_fma_f16 v4, v4, v62, -v41
	v_fmac_f16_e32 v45, v5, v48
	v_mul_f16_e64 v36, v243, v64
	v_mul_f16_e64 v41, v243, v39
	v_lshrrev_b32_e32 v48, 16, v7
	v_lshrrev_b32_e32 v67, 16, v42
	;; [unrolled: 1-line block ×3, first 2 shown]
	v_fma_f16 v5, v5, v63, -v55
	v_mul_f16_e32 v55, v107, v66
	v_mul_f16_e32 v43, v48, v65
	;; [unrolled: 1-line block ×3, first 2 shown]
	v_fmac_f16_e32 v36, v6, v39
	v_fma_f16 v6, v6, v64, -v41
	v_lshrrev_b32_e32 v41, 16, v28
	v_lshrrev_b32_e32 v70, 16, v37
	;; [unrolled: 1-line block ×4, first 2 shown]
	v_fmac_f16_e32 v43, v7, v46
	v_fma_f16 v7, v7, v65, -v48
	v_fmac_f16_e32 v55, v27, v33
	v_mul_f16_e32 v33, v107, v33
	v_mul_f16_e32 v39, v41, v67
	;; [unrolled: 1-line block ×3, first 2 shown]
	v_mul_f16_e64 v46, v132, v69
	v_mul_f16_e64 v48, v132, v44
	v_lshrrev_b32_e32 v74, 16, v34
	v_lshrrev_b32_e32 v75, 16, v54
	v_fma_f16 v27, v27, v66, -v33
	v_fmac_f16_e32 v39, v28, v42
	v_fma_f16 v28, v28, v67, -v41
	v_fmac_f16_e32 v46, v12, v44
	v_fma_f16 v12, v12, v69, -v48
	v_mul_f16_e32 v33, v108, v70
	v_mul_f16_e32 v41, v108, v37
	;; [unrolled: 1-line block ×5, first 2 shown]
	v_fmac_f16_e32 v33, v13, v37
	v_fma_f16 v13, v13, v70, -v41
	v_fmac_f16_e32 v42, v14, v40
	v_fma_f16 v14, v14, v72, -v44
	v_fmac_f16_e32 v48, v15, v35
	v_mul_f16_e32 v35, v110, v35
	v_mul_f16_e32 v37, v111, v74
	;; [unrolled: 1-line block ×5, first 2 shown]
	v_fma_f16 v15, v15, v73, -v35
	v_fmac_f16_e32 v37, v95, v34
	v_fma_f16 v34, v95, v74, -v40
	v_fmac_f16_e32 v41, v96, v54
	v_fma_f16 v35, v96, v75, -v44
	v_add_f16_e32 v40, v71, v56
	v_add_f16_e32 v44, v0, v26
	v_sub_f16_e32 v54, v71, v56
	v_sub_f16_e32 v0, v0, v26
	v_add_f16_e32 v26, v76, v47
	v_add_f16_e32 v56, v1, v25
	v_sub_f16_e32 v47, v76, v47
	v_sub_f16_e32 v1, v1, v25
	;; [unrolled: 4-line block ×3, first 2 shown]
	v_add_f16_e32 v3, v26, v40
	v_add_f16_e32 v58, v56, v44
	v_lshrrev_b32_e32 v22, 16, v31
	v_sub_f16_e32 v59, v26, v40
	v_sub_f16_e32 v60, v56, v44
	;; [unrolled: 1-line block ×6, first 2 shown]
	v_add_f16_e32 v62, v30, v47
	v_add_f16_e32 v63, v2, v1
	v_sub_f16_e32 v64, v30, v47
	v_sub_f16_e32 v65, v2, v1
	;; [unrolled: 1-line block ×3, first 2 shown]
	v_add_f16_e32 v3, v25, v3
	v_add_f16_e32 v25, v57, v58
	v_sub_f16_e32 v1, v1, v0
	v_sub_f16_e32 v30, v54, v30
	;; [unrolled: 1-line block ×3, first 2 shown]
	v_add_f16_e32 v54, v62, v54
	v_add_f16_e32 v0, v63, v0
	v_add_f16_e32 v31, v31, v3
	v_add_f16_e32 v22, v22, v25
	v_mul_f16_e32 v40, 0x3a52, v40
	v_mul_f16_e32 v44, 0x3a52, v44
	;; [unrolled: 1-line block ×8, first 2 shown]
	v_fmamk_f16 v3, v3, 0xbcab, v31
	v_fmamk_f16 v25, v25, 0xbcab, v22
	;; [unrolled: 1-line block ×4, first 2 shown]
	v_fma_f16 v57, v59, 0x39e0, -v57
	v_fma_f16 v58, v60, 0x39e0, -v58
	;; [unrolled: 1-line block ×4, first 2 shown]
	v_fmamk_f16 v59, v30, 0xb574, v62
	v_fmamk_f16 v60, v2, 0xb574, v63
	v_fma_f16 v30, v30, 0x3574, -v64
	v_fma_f16 v2, v2, 0x3574, -v65
	;; [unrolled: 1-line block ×4, first 2 shown]
	v_add_f16_e32 v26, v26, v3
	v_add_f16_e32 v56, v56, v25
	;; [unrolled: 1-line block ×6, first 2 shown]
	v_fmac_f16_e32 v59, 0xb70e, v54
	v_fmac_f16_e32 v60, 0xb70e, v0
	;; [unrolled: 1-line block ×6, first 2 shown]
	v_add_f16_e32 v0, v60, v26
	v_sub_f16_e32 v40, v56, v59
	v_add_f16_e32 v44, v2, v3
	v_sub_f16_e32 v54, v25, v30
	v_sub_f16_e32 v2, v3, v2
	v_add_f16_e32 v3, v30, v25
	v_sub_f16_e32 v25, v26, v60
	v_add_f16_e32 v26, v59, v56
	v_add_f16_e32 v30, v38, v39
	;; [unrolled: 1-line block ×3, first 2 shown]
	v_sub_f16_e32 v38, v38, v39
	v_sub_f16_e32 v4, v4, v28
	v_add_f16_e32 v28, v45, v55
	v_add_f16_e32 v39, v5, v27
	v_sub_f16_e32 v45, v45, v55
	v_sub_f16_e32 v5, v5, v27
	v_add_f16_e32 v27, v36, v43
	v_add_f16_e32 v55, v6, v7
	;; [unrolled: 4-line block ×3, first 2 shown]
	v_lshrrev_b32_e32 v61, 16, v32
	v_sub_f16_e32 v62, v57, v1
	v_add_f16_e32 v63, v47, v58
	v_add_f16_e32 v1, v1, v57
	v_sub_f16_e32 v47, v58, v47
	v_sub_f16_e32 v57, v28, v30
	;; [unrolled: 1-line block ×7, first 2 shown]
	v_add_f16_e32 v59, v36, v45
	v_add_f16_e32 v60, v6, v5
	v_sub_f16_e32 v64, v36, v45
	v_sub_f16_e32 v65, v6, v5
	;; [unrolled: 1-line block ×3, first 2 shown]
	v_add_f16_e32 v7, v27, v7
	v_add_f16_e32 v27, v55, v43
	v_sub_f16_e32 v5, v5, v4
	v_sub_f16_e32 v36, v38, v36
	;; [unrolled: 1-line block ×3, first 2 shown]
	v_add_f16_e32 v38, v59, v38
	v_add_f16_e32 v4, v60, v4
	;; [unrolled: 1-line block ×4, first 2 shown]
	v_mul_f16_e32 v30, 0x3a52, v30
	v_mul_f16_e32 v55, 0x3a52, v56
	;; [unrolled: 1-line block ×8, first 2 shown]
	v_fmamk_f16 v7, v7, 0xbcab, v32
	v_fmamk_f16 v27, v27, 0xbcab, v43
	;; [unrolled: 1-line block ×4, first 2 shown]
	v_fma_f16 v56, v57, 0x39e0, -v56
	v_fma_f16 v59, v58, 0x39e0, -v59
	v_fma_f16 v30, v57, 0xb9e0, -v30
	v_fma_f16 v55, v58, 0xb9e0, -v55
	v_fmamk_f16 v57, v36, 0xb574, v60
	v_fmamk_f16 v58, v6, 0xb574, v61
	v_fma_f16 v36, v36, 0x3574, -v64
	v_fma_f16 v6, v6, 0x3574, -v65
	;; [unrolled: 1-line block ×4, first 2 shown]
	v_add_f16_e32 v28, v28, v7
	v_add_f16_e32 v39, v39, v27
	;; [unrolled: 1-line block ×6, first 2 shown]
	v_fmac_f16_e32 v57, 0xb70e, v38
	v_fmac_f16_e32 v58, 0xb70e, v4
	;; [unrolled: 1-line block ×6, first 2 shown]
	v_add_f16_e32 v4, v58, v28
	v_sub_f16_e32 v30, v39, v57
	v_add_f16_e32 v38, v6, v7
	v_sub_f16_e32 v55, v27, v36
	v_sub_f16_e32 v6, v7, v6
	v_add_f16_e32 v7, v36, v27
	v_sub_f16_e32 v27, v28, v58
	v_add_f16_e32 v28, v57, v39
	v_add_f16_e32 v36, v46, v41
	;; [unrolled: 1-line block ×3, first 2 shown]
	v_sub_f16_e32 v41, v46, v41
	v_sub_f16_e32 v12, v12, v35
	v_add_f16_e32 v35, v33, v37
	v_add_f16_e32 v46, v13, v34
	v_sub_f16_e32 v33, v33, v37
	v_sub_f16_e32 v13, v13, v34
	v_add_f16_e32 v34, v42, v48
	v_add_f16_e32 v37, v14, v15
	;; [unrolled: 4-line block ×3, first 2 shown]
	v_lshrrev_b32_e32 v68, 16, v29
	v_sub_f16_e32 v60, v56, v5
	v_add_f16_e32 v61, v45, v59
	v_add_f16_e32 v5, v5, v56
	v_sub_f16_e32 v45, v59, v45
	v_sub_f16_e32 v56, v35, v36
	v_sub_f16_e32 v57, v46, v39
	v_sub_f16_e32 v36, v36, v34
	v_sub_f16_e32 v39, v39, v37
	v_sub_f16_e32 v35, v34, v35
	v_sub_f16_e32 v46, v37, v46
	v_add_f16_e32 v58, v42, v33
	v_add_f16_e32 v59, v14, v13
	v_sub_f16_e32 v64, v42, v33
	v_sub_f16_e32 v65, v14, v13
	;; [unrolled: 1-line block ×3, first 2 shown]
	v_add_f16_e32 v15, v34, v15
	v_add_f16_e32 v34, v37, v48
	v_sub_f16_e32 v13, v13, v12
	v_sub_f16_e32 v42, v41, v42
	;; [unrolled: 1-line block ×3, first 2 shown]
	v_add_f16_e32 v37, v58, v41
	v_add_f16_e32 v12, v59, v12
	;; [unrolled: 1-line block ×4, first 2 shown]
	v_mul_f16_e32 v36, 0x3a52, v36
	v_mul_f16_e32 v39, 0x3a52, v39
	;; [unrolled: 1-line block ×8, first 2 shown]
	v_fmamk_f16 v15, v15, 0xbcab, v29
	v_fmamk_f16 v34, v34, 0xbcab, v41
	;; [unrolled: 1-line block ×4, first 2 shown]
	v_fma_f16 v48, v56, 0x39e0, -v48
	v_fma_f16 v58, v57, 0x39e0, -v58
	;; [unrolled: 1-line block ×4, first 2 shown]
	v_fmamk_f16 v56, v42, 0xb574, v59
	v_fmamk_f16 v57, v14, 0xb574, v64
	v_fma_f16 v42, v42, 0x3574, -v65
	v_fma_f16 v14, v14, 0x3574, -v66
	;; [unrolled: 1-line block ×4, first 2 shown]
	v_add_f16_e32 v35, v35, v15
	v_add_f16_e32 v46, v46, v34
	;; [unrolled: 1-line block ×6, first 2 shown]
	v_fmac_f16_e32 v56, 0xb70e, v37
	v_fmac_f16_e32 v57, 0xb70e, v12
	;; [unrolled: 1-line block ×4, first 2 shown]
	v_pack_b32_f16 v0, v0, v40
	v_fmac_f16_e32 v33, 0xb70e, v37
	v_fmac_f16_e32 v13, 0xb70e, v12
	v_pack_b32_f16 v22, v31, v22
	v_pack_b32_f16 v31, v44, v54
	;; [unrolled: 1-line block ×5, first 2 shown]
	v_add_f16_e32 v12, v57, v35
	v_sub_f16_e32 v36, v46, v56
	v_add_f16_e32 v37, v14, v15
	v_sub_f16_e32 v39, v34, v42
	v_pack_b32_f16 v3, v25, v26
	v_pack_b32_f16 v25, v32, v43
	ds_store_b32 v116, v0 offset:972
	ds_store_b32 v116, v31 offset:1944
	;; [unrolled: 1-line block ×6, first 2 shown]
	ds_store_2addr_b32 v116, v22, v25 offset1:63
	v_pack_b32_f16 v2, v60, v61
	v_sub_f16_e32 v59, v48, v13
	v_add_f16_e32 v64, v33, v58
	v_pack_b32_f16 v3, v5, v45
	v_add_f16_e32 v13, v13, v48
	v_sub_f16_e32 v33, v58, v33
	v_pack_b32_f16 v0, v4, v30
	v_pack_b32_f16 v4, v6, v7
	v_sub_f16_e32 v14, v15, v14
	v_add_f16_e32 v15, v42, v34
	v_pack_b32_f16 v5, v27, v28
	v_sub_f16_e32 v34, v35, v57
	v_add_f16_e32 v35, v56, v46
	v_pack_b32_f16 v1, v38, v55
	v_pack_b32_f16 v6, v29, v41
	v_pack_b32_f16 v7, v12, v36
	ds_store_b32 v116, v2 offset:3168
	ds_store_b32 v116, v3 offset:4140
	;; [unrolled: 1-line block ×6, first 2 shown]
	ds_store_2addr_b32 v97, v0, v7 offset0:50 offset1:113
	v_pack_b32_f16 v0, v37, v39
	v_pack_b32_f16 v1, v59, v64
	;; [unrolled: 1-line block ×5, first 2 shown]
	ds_store_b32 v116, v0 offset:2448
	ds_store_b32 v116, v1 offset:3420
	;; [unrolled: 1-line block ×5, first 2 shown]
	s_and_saveexec_b32 s0, vcc_lo
	s_cbranch_execz .LBB0_9
; %bb.8:
	v_lshrrev_b32_e32 v22, 16, v9
	v_lshrrev_b32_e32 v27, 16, v93
	;; [unrolled: 1-line block ×5, first 2 shown]
	v_mul_f16_e32 v3, v22, v49
	v_mul_f16_e32 v4, v27, v50
	;; [unrolled: 1-line block ×4, first 2 shown]
	v_lshrrev_b32_e32 v25, 16, v10
	v_mul_f16_e32 v5, v12, v103
	v_fmac_f16_e32 v3, v9, v19
	v_fmac_f16_e32 v4, v93, v17
	v_mul_f16_e32 v12, v12, v102
	v_mul_f16_e32 v15, v15, v21
	v_mul_f16_e32 v17, v27, v17
	v_mul_f16_e32 v19, v22, v19
	v_mul_f16_e32 v2, v25, v53
	v_fmac_f16_e32 v1, v11, v18
	v_fmac_f16_e32 v0, v8, v21
	v_fma_f16 v12, v94, v103, -v12
	v_fma_f16 v8, v8, v52, -v15
	v_mul_f16_e32 v15, v25, v23
	v_mul_f16_e32 v18, v26, v18
	v_fma_f16 v17, v93, v50, -v17
	v_fma_f16 v9, v9, v49, -v19
	v_fmac_f16_e32 v2, v10, v23
	v_fmac_f16_e32 v5, v94, v102
	v_add_f16_e32 v19, v12, v8
	v_fma_f16 v10, v10, v53, -v15
	v_fma_f16 v11, v11, v51, -v18
	v_add_f16_e32 v15, v17, v9
	v_sub_f16_e32 v7, v3, v4
	v_sub_f16_e32 v13, v0, v5
	v_add_f16_e32 v0, v5, v0
	v_add_f16_e32 v22, v10, v11
	;; [unrolled: 1-line block ×4, first 2 shown]
	v_sub_f16_e32 v6, v1, v2
	v_add_f16_e32 v1, v2, v1
	v_sub_f16_e32 v25, v19, v22
	v_add_f16_e32 v23, v22, v23
	;; [unrolled: 2-line block ×3, first 2 shown]
	v_sub_f16_e32 v10, v11, v10
	v_mul_f16_e32 v5, 0x3a52, v25
	v_sub_f16_e32 v25, v0, v1
	v_sub_f16_e32 v9, v9, v17
	v_add_f16_e32 v22, v1, v22
	v_sub_f16_e32 v8, v8, v12
	v_sub_f16_e32 v14, v6, v7
	v_mul_f16_e32 v11, 0x3a52, v25
	v_sub_f16_e32 v1, v1, v3
	v_add_f16_e32 v17, v20, v22
	v_sub_f16_e32 v12, v10, v9
	v_sub_f16_e32 v21, v13, v6
	v_add_f16_e32 v6, v6, v7
	v_sub_f16_e32 v25, v8, v10
	;; [unrolled: 3-line block ×3, first 2 shown]
	v_sub_f16_e32 v3, v9, v8
	v_mul_f16_e32 v14, 0x3846, v14
	v_add_f16_e32 v2, v24, v23
	v_mul_f16_e32 v24, 0x2b26, v4
	v_fmamk_f16 v20, v1, 0x2b26, v11
	v_fmamk_f16 v22, v22, 0xbcab, v17
	v_mul_f16_e32 v12, 0x3846, v12
	v_sub_f16_e32 v15, v15, v19
	v_mul_f16_e32 v1, 0x2b26, v1
	v_mul_f16_e32 v27, 0xbb00, v7
	v_add_f16_e32 v8, v10, v8
	v_fma_f16 v10, v0, 0xb9e0, -v11
	v_mul_f16_e32 v11, 0xbb00, v3
	v_fmamk_f16 v18, v21, 0xb574, v14
	v_add_f16_e32 v6, v6, v13
	v_fmamk_f16 v4, v4, 0x2b26, v5
	v_fmamk_f16 v23, v23, 0xbcab, v2
	v_add_f16_e32 v13, v20, v22
	v_fmamk_f16 v20, v25, 0xb574, v12
	v_fma_f16 v5, v15, 0xb9e0, -v5
	v_fma_f16 v15, v15, 0x39e0, -v24
	;; [unrolled: 1-line block ×7, first 2 shown]
	v_fmac_f16_e32 v18, 0xb70e, v6
	v_add_f16_e32 v4, v4, v23
	v_fmac_f16_e32 v20, 0xb70e, v8
	v_add_f16_e32 v1, v15, v23
	v_fmac_f16_e32 v7, 0xb70e, v6
	v_fmac_f16_e32 v9, 0xb70e, v6
	v_add_f16_e32 v5, v5, v23
	v_add_f16_e32 v10, v10, v22
	v_fmac_f16_e32 v11, 0xb70e, v8
	v_fmac_f16_e32 v3, 0xb70e, v8
	v_add_f16_e32 v0, v0, v22
	v_add_f16_e32 v26, v18, v4
	v_sub_f16_e32 v14, v1, v7
	v_add_f16_e32 v1, v7, v1
	v_sub_f16_e32 v4, v4, v18
	v_add_f16_e32 v7, v20, v13
	v_add_f16_e32 v8, v9, v5
	;; [unrolled: 1-line block ×3, first 2 shown]
	v_sub_f16_e32 v5, v5, v9
	v_add_f16_e32 v9, v11, v10
	v_sub_f16_e32 v0, v0, v3
	v_sub_f16_e32 v12, v10, v11
	v_sub_f16_e32 v6, v13, v20
	v_pack_b32_f16 v2, v17, v2
	v_pack_b32_f16 v3, v7, v4
	v_add_nc_u32_e32 v4, 0x2e0, v116
	v_pack_b32_f16 v5, v9, v5
	v_pack_b32_f16 v0, v0, v1
	v_add_nc_u32_e32 v1, 0xa80, v116
	;; [unrolled: 3-line block ×3, first 2 shown]
	v_pack_b32_f16 v6, v6, v26
	ds_store_2addr_b32 v4, v2, v3 offset0:5 offset1:248
	ds_store_2addr_b32 v1, v5, v0 offset0:3 offset1:246
	;; [unrolled: 1-line block ×3, first 2 shown]
	ds_store_b32 v116, v6 offset:6588
.LBB0_9:
	s_wait_alu 0xfffe
	s_or_b32 exec_lo, exec_lo, s0
	global_wb scope:SCOPE_SE
	s_wait_dscnt 0x0
	s_barrier_signal -1
	s_barrier_wait -1
	global_inv scope:SCOPE_SE
	ds_load_2addr_b32 v[4:5], v116 offset1:63
	v_add_nc_u32_e32 v0, 0x600, v116
	v_lshrrev_b32_e32 v7, 16, v160
	v_add_nc_u32_e32 v6, 0x1000, v116
	v_lshrrev_b32_e32 v11, 16, v161
	s_mov_b32 s8, 0x9c850ab
	ds_load_2addr_b32 v[0:1], v0 offset0:120 offset1:183
	s_mov_b32 s9, 0x3f434393
	v_lshrrev_b32_e32 v38, 16, v155
	s_wait_dscnt 0x1
	v_lshrrev_b32_e32 v2, 16, v4
	v_mul_f16_e32 v3, v7, v4
	s_delay_alu instid0(VALU_DEP_2) | instskip(NEXT) | instid1(VALU_DEP_2)
	v_mul_f16_e32 v7, v7, v2
	v_fma_f16 v8, v160, v2, -v3
	ds_load_2addr_b32 v[2:3], v6 offset0:110 offset1:173
	s_wait_dscnt 0x1
	v_lshrrev_b32_e32 v10, 16, v1
	v_fmac_f16_e64 v7, v160, v4
	v_cvt_f32_f16_e32 v4, v8
	v_mul_f16_e32 v8, v11, v1
	s_delay_alu instid0(VALU_DEP_4) | instskip(NEXT) | instid1(VALU_DEP_4)
	v_mul_f16_e32 v12, v11, v10
	v_cvt_f32_f16_e32 v9, v7
	s_delay_alu instid0(VALU_DEP_4) | instskip(NEXT) | instid1(VALU_DEP_4)
	v_cvt_f64_f32_e32 v[6:7], v4
	v_fma_f16 v4, v161, v10, -v8
	s_delay_alu instid0(VALU_DEP_4) | instskip(NEXT) | instid1(VALU_DEP_4)
	v_fmac_f16_e64 v12, v161, v1
	v_cvt_f64_f32_e32 v[8:9], v9
	s_delay_alu instid0(VALU_DEP_3) | instskip(NEXT) | instid1(VALU_DEP_1)
	v_cvt_f32_f16_e32 v4, v4
	v_cvt_f64_f32_e32 v[10:11], v4
	s_wait_dscnt 0x0
	v_lshrrev_b32_e32 v1, 16, v2
	v_cvt_f32_f16_e32 v4, v12
	v_lshrrev_b32_e32 v12, 16, v158
	s_delay_alu instid0(VALU_DEP_1) | instskip(NEXT) | instid1(VALU_DEP_4)
	v_mul_f16_e32 v14, v12, v2
	v_mul_f16_e32 v15, v12, v1
	s_delay_alu instid0(VALU_DEP_4) | instskip(NEXT) | instid1(VALU_DEP_3)
	v_cvt_f64_f32_e32 v[12:13], v4
	v_fma_f16 v4, v158, v1, -v14
	s_delay_alu instid0(VALU_DEP_3) | instskip(SKIP_1) | instid1(VALU_DEP_3)
	v_fmac_f16_e64 v15, v158, v2
	v_mad_co_u64_u32 v[1:2], null, s6, v16, 0
	v_cvt_f32_f16_e32 v4, v4
	s_delay_alu instid0(VALU_DEP_3) | instskip(SKIP_1) | instid1(VALU_DEP_3)
	v_cvt_f32_f16_e32 v19, v15
	v_mad_co_u64_u32 v[14:15], null, s4, v156, 0
	v_cvt_f64_f32_e32 v[17:18], v4
	s_delay_alu instid0(VALU_DEP_3)
	v_cvt_f64_f32_e32 v[19:20], v19
	s_wait_alu 0xfffe
	v_mul_f64_e32 v[6:7], s[8:9], v[6:7]
	v_mul_f64_e32 v[8:9], s[8:9], v[8:9]
	;; [unrolled: 1-line block ×4, first 2 shown]
	s_delay_alu instid0(VALU_DEP_3) | instskip(NEXT) | instid1(VALU_DEP_3)
	v_and_or_b32 v8, 0x1ff, v9, v8
	v_bfe_u32 v25, v11, 20, 11
	v_mov_b32_e32 v4, v15
	v_mad_co_u64_u32 v[15:16], null, s7, v16, v[2:3]
	v_and_or_b32 v10, 0x1ff, v11, v10
	s_delay_alu instid0(VALU_DEP_4)
	v_sub_nc_u32_e32 v28, 0x3f1, v25
	v_add_nc_u32_e32 v25, 0xfffffc10, v25
	v_mad_co_u64_u32 v[21:22], null, s5, v156, v[4:5]
	v_lshrrev_b32_e32 v4, 16, v5
	v_bfe_u32 v27, v13, 20, 11
	v_mov_b32_e32 v2, v15
	v_bfe_u32 v22, v9, 20, 11
	v_and_or_b32 v12, 0x1ff, v13, v12
	v_mul_f16_e32 v16, v38, v4
	v_mov_b32_e32 v15, v21
	v_sub_nc_u32_e32 v30, 0x3f1, v27
	v_add_nc_u32_e32 v27, 0xfffffc10, v27
	v_lshlrev_b64_e32 v[1:2], 2, v[1:2]
	v_fmac_f16_e64 v16, v155, v5
	v_lshlrev_b64_e32 v[14:15], 2, v[14:15]
	v_sub_nc_u32_e32 v26, 0x3f1, v22
	v_lshrrev_b32_e32 v24, 8, v11
	v_add_nc_u32_e32 v22, 0xfffffc10, v22
	v_add_co_u32 v1, vcc_lo, s2, v1
	s_wait_alu 0xfffd
	v_add_co_ci_u32_e32 v2, vcc_lo, s3, v2, vcc_lo
	v_cvt_f32_f16_e32 v21, v16
	s_delay_alu instid0(VALU_DEP_3)
	v_add_co_u32 v14, vcc_lo, v1, v14
	v_and_or_b32 v1, 0x1ff, v7, v6
	s_wait_alu 0xfffd
	v_add_co_ci_u32_e32 v15, vcc_lo, v2, v15, vcc_lo
	v_lshrrev_b32_e32 v2, 8, v7
	v_bfe_u32 v6, v7, 20, 11
	v_cmp_ne_u32_e32 vcc_lo, 0, v1
	v_mul_f64_e32 v[16:17], s[8:9], v[17:18]
	v_mul_f64_e32 v[18:19], s[8:9], v[19:20]
	v_lshrrev_b32_e32 v20, 8, v9
	v_sub_nc_u32_e32 v23, 0x3f1, v6
	s_wait_alu 0xfffd
	v_cndmask_b32_e64 v1, 0, 1, vcc_lo
	v_cmp_ne_u32_e32 vcc_lo, 0, v8
	v_add_nc_u32_e32 v6, 0xfffffc10, v6
	v_cmp_gt_i32_e64 s1, 1, v27
	v_lshrrev_b32_e32 v9, 16, v9
	v_and_or_b32 v1, 0xffe, v2, v1
	s_wait_alu 0xfffd
	v_cndmask_b32_e64 v8, 0, 1, vcc_lo
	v_cmp_ne_u32_e32 vcc_lo, 0, v10
	v_med3_i32 v2, v23, 0, 13
	v_lshrrev_b32_e32 v23, 8, v13
	v_lshl_or_b32 v29, v6, 12, v1
	v_and_or_b32 v8, 0xffe, v20, v8
	s_wait_alu 0xfffd
	v_cndmask_b32_e64 v10, 0, 1, vcc_lo
	v_cmp_ne_u32_e32 vcc_lo, 0, v1
	v_med3_i32 v20, v26, 0, 13
	v_or_b32_e32 v26, 0x1000, v1
	v_lshl_or_b32 v31, v22, 12, v8
	v_and_or_b32 v10, 0xffe, v24, v10
	s_wait_alu 0xfffd
	v_cndmask_b32_e64 v1, 0, 1, vcc_lo
	v_cmp_ne_u32_e32 vcc_lo, 0, v12
	v_med3_i32 v24, v28, 0, 13
	v_or_b32_e32 v28, 0x1000, v8
	v_lshrrev_b32_e32 v32, v2, v26
	v_lshl_or_b32 v33, v25, 12, v10
	s_wait_alu 0xfffd
	v_cndmask_b32_e64 v12, 0, 1, vcc_lo
	v_cmp_ne_u32_e32 vcc_lo, 0, v8
	v_lshrrev_b32_e32 v34, v20, v28
	v_lshlrev_b32_e32 v2, v2, v32
	v_lshl_or_b32 v1, v1, 9, 0x7c00
	v_and_or_b32 v12, 0xffe, v23, v12
	s_wait_alu 0xfffd
	v_cndmask_b32_e64 v8, 0, 1, vcc_lo
	v_med3_i32 v23, v30, 0, 13
	v_or_b32_e32 v30, 0x1000, v10
	v_lshlrev_b32_e32 v20, v20, v34
	v_cmp_ne_u32_e32 vcc_lo, 0, v12
	v_or_b32_e32 v35, 0x1000, v12
	v_lshl_or_b32 v36, v27, 12, v12
	v_lshrrev_b32_e32 v37, v24, v30
	v_lshl_or_b32 v8, v8, 9, 0x7c00
	s_wait_alu 0xfffd
	v_cndmask_b32_e64 v12, 0, 1, vcc_lo
	v_cmp_ne_u32_e32 vcc_lo, v2, v26
	v_lshrrev_b32_e32 v26, v23, v35
	v_lshlrev_b32_e32 v24, v24, v37
	v_lshrrev_b32_e32 v7, 16, v7
	v_lshl_or_b32 v12, v12, 9, 0x7c00
	s_wait_alu 0xfffd
	v_cndmask_b32_e64 v2, 0, 1, vcc_lo
	v_cmp_ne_u32_e32 vcc_lo, v20, v28
	v_lshrrev_b32_e32 v13, 16, v13
	v_mul_f16_e32 v5, v38, v5
	v_and_or_b32 v16, 0x1ff, v17, v16
	v_or_b32_e32 v2, v32, v2
	s_wait_alu 0xfffd
	v_cndmask_b32_e64 v20, 0, 1, vcc_lo
	v_cmp_ne_u32_e32 vcc_lo, v24, v30
	v_fma_f16 v4, v155, v4, -v5
	v_lshrrev_b32_e32 v11, 16, v11
	s_movk_i32 s6, 0xef44
	v_or_b32_e32 v20, v34, v20
	s_wait_alu 0xfffd
	v_cndmask_b32_e64 v24, 0, 1, vcc_lo
	v_cmp_gt_i32_e32 vcc_lo, 1, v6
	v_cvt_f32_f16_e32 v4, v4
	s_mov_b32 s7, -1
	s_delay_alu instid0(VALU_DEP_3) | instskip(SKIP_3) | instid1(VALU_DEP_2)
	v_or_b32_e32 v24, v37, v24
	v_lshlrev_b32_e32 v23, v23, v26
	s_wait_alu 0xfffd
	v_cndmask_b32_e32 v2, v29, v2, vcc_lo
	v_cmp_ne_u32_e32 vcc_lo, v23, v35
	s_delay_alu instid0(VALU_DEP_2)
	v_and_b32_e32 v28, 7, v2
	v_lshrrev_b32_e32 v2, 2, v2
	s_wait_alu 0xfffd
	v_cndmask_b32_e64 v23, 0, 1, vcc_lo
	v_cmp_gt_i32_e32 vcc_lo, 1, v22
	v_cmp_eq_u32_e64 s0, 3, v28
	s_delay_alu instid0(VALU_DEP_3)
	v_or_b32_e32 v23, v26, v23
	s_wait_alu 0xfffd
	v_cndmask_b32_e32 v20, v31, v20, vcc_lo
	v_cmp_gt_i32_e32 vcc_lo, 1, v25
	s_wait_alu 0xf1ff
	v_cndmask_b32_e64 v23, v36, v23, s1
	s_delay_alu instid0(VALU_DEP_3)
	v_and_b32_e32 v26, 7, v20
	s_wait_alu 0xfffd
	v_cndmask_b32_e32 v24, v33, v24, vcc_lo
	v_cmp_lt_i32_e32 vcc_lo, 5, v28
	v_lshrrev_b32_e32 v20, 2, v20
	v_cmp_lt_i32_e64 s1, 5, v26
	v_cmp_eq_u32_e64 s2, 3, v26
	s_or_b32 vcc_lo, s0, vcc_lo
	v_and_b32_e32 v26, 7, v23
	s_wait_alu 0xfffe
	v_add_co_ci_u32_e32 v2, vcc_lo, 0, v2, vcc_lo
	s_or_b32 vcc_lo, s2, s1
	v_cmp_gt_i32_e64 s1, 31, v6
	s_wait_alu 0xfffe
	v_add_co_ci_u32_e32 v20, vcc_lo, 0, v20, vcc_lo
	v_cmp_lt_i32_e32 vcc_lo, 5, v26
	v_cmp_eq_u32_e64 s0, 3, v26
	v_lshrrev_b32_e32 v23, 2, v23
	s_wait_alu 0xf1ff
	v_cndmask_b32_e64 v2, 0x7c00, v2, s1
	v_cmp_gt_i32_e64 s1, 31, v22
	s_mul_u64 s[2:3], s[4:5], 0x8dc
	s_or_b32 vcc_lo, s0, vcc_lo
	s_mul_u64 s[4:5], s[4:5], s[6:7]
	s_wait_alu 0xfffe
	v_add_co_ci_u32_e32 v23, vcc_lo, 0, v23, vcc_lo
	v_cndmask_b32_e64 v20, 0x7c00, v20, s1
	v_cmp_eq_u32_e32 vcc_lo, 0x40f, v22
	s_wait_alu 0xfffd
	s_delay_alu instid0(VALU_DEP_2) | instskip(SKIP_2) | instid1(VALU_DEP_3)
	v_cndmask_b32_e32 v8, v20, v8, vcc_lo
	v_cmp_eq_u32_e32 vcc_lo, 0x40f, v6
	v_lshrrev_b32_e32 v20, 8, v17
	v_and_or_b32 v6, 0x8000, v9, v8
	s_wait_alu 0xfffd
	v_cndmask_b32_e32 v1, v2, v1, vcc_lo
	v_cmp_gt_i32_e32 vcc_lo, 31, v27
	v_and_b32_e32 v8, 7, v24
	v_and_b32_e32 v6, 0xffff, v6
	s_delay_alu instid0(VALU_DEP_4)
	v_and_or_b32 v1, 0x8000, v7, v1
	s_wait_alu 0xfffd
	v_cndmask_b32_e32 v2, 0x7c00, v23, vcc_lo
	v_cmp_eq_u32_e32 vcc_lo, 0x40f, v27
	v_and_or_b32 v7, 0x1ff, v19, v18
	v_cmp_eq_u32_e64 s0, 3, v8
	v_lshl_or_b32 v9, v1, 16, v6
	v_lshrrev_b32_e32 v6, 2, v24
	s_wait_alu 0xfffd
	v_cndmask_b32_e32 v2, v2, v12, vcc_lo
	v_cmp_ne_u32_e64 s1, 0, v7
	v_cmp_lt_i32_e32 vcc_lo, 5, v8
	v_lshrrev_b32_e32 v12, 8, v19
	global_store_b32 v[14:15], v9, off
	v_and_or_b32 v8, 0x8000, v13, v2
	v_cvt_f64_f32_e32 v[1:2], v21
	s_wait_alu 0xf1ff
	v_cndmask_b32_e64 v7, 0, 1, s1
	v_bfe_u32 v13, v19, 20, 11
	s_or_b32 vcc_lo, s0, vcc_lo
	v_and_b32_e32 v8, 0xffff, v8
	s_wait_alu 0xfffe
	v_add_co_ci_u32_e32 v6, vcc_lo, 0, v6, vcc_lo
	v_and_or_b32 v12, 0xffe, v12, v7
	v_sub_nc_u32_e32 v7, 0x3f1, v13
	v_cmp_ne_u32_e32 vcc_lo, 0, v10
	v_add_nc_u32_e32 v13, 0xfffffc10, v13
	v_lshrrev_b32_e32 v19, 16, v19
	v_or_b32_e32 v18, 0x1000, v12
	v_med3_i32 v7, v7, 0, 13
	s_wait_alu 0xfffd
	v_cndmask_b32_e64 v10, 0, 1, vcc_lo
	v_cmp_gt_i32_e32 vcc_lo, 31, v25
	v_lshl_or_b32 v21, v13, 12, v12
	v_lshrrev_b32_e32 v27, 16, v163
	s_wait_alu 0xfffd
	v_cndmask_b32_e32 v5, 0x7c00, v6, vcc_lo
	v_lshl_or_b32 v6, v10, 9, 0x7c00
	v_lshrrev_b32_e32 v10, v7, v18
	v_cmp_eq_u32_e32 vcc_lo, 0x40f, v25
	s_delay_alu instid0(VALU_DEP_2) | instskip(SKIP_4) | instid1(VALU_DEP_3)
	v_lshlrev_b32_e32 v7, v7, v10
	s_wait_alu 0xfffd
	v_cndmask_b32_e32 v6, v5, v6, vcc_lo
	v_cmp_ne_u32_e32 vcc_lo, 0, v16
	v_cvt_f64_f32_e32 v[4:5], v4
	v_and_or_b32 v11, 0x8000, v11, v6
	s_wait_alu 0xfffd
	v_cndmask_b32_e64 v16, 0, 1, vcc_lo
	v_cmp_ne_u32_e32 vcc_lo, v7, v18
	v_bfe_u32 v18, v17, 20, 11
	v_lshrrev_b32_e32 v17, 16, v17
	v_lshl_or_b32 v24, v11, 16, v8
	v_and_or_b32 v16, 0xffe, v20, v16
	s_wait_alu 0xfffd
	v_cndmask_b32_e64 v7, 0, 1, vcc_lo
	v_sub_nc_u32_e32 v20, 0x3f1, v18
	v_cmp_gt_i32_e32 vcc_lo, 1, v13
	v_or_b32_e32 v22, 0x1000, v16
	s_delay_alu instid0(VALU_DEP_4)
	v_or_b32_e32 v10, v10, v7
	v_mul_f64_e32 v[6:7], s[8:9], v[1:2]
	v_add_nc_u32_e32 v1, 0x800, v116
	v_med3_i32 v20, v20, 0, 13
	s_wait_alu 0xfffd
	v_cndmask_b32_e32 v10, v21, v10, vcc_lo
	ds_load_2addr_b32 v[1:2], v1 offset0:118 offset1:181
	v_lshrrev_b32_e32 v21, v20, v22
	v_and_b32_e32 v23, 7, v10
	v_lshrrev_b32_e32 v9, 2, v10
	v_add_nc_u32_e32 v10, 0xfffffc10, v18
	s_delay_alu instid0(VALU_DEP_4) | instskip(NEXT) | instid1(VALU_DEP_4)
	v_lshlrev_b32_e32 v8, v20, v21
	v_cmp_lt_i32_e32 vcc_lo, 5, v23
	v_cmp_eq_u32_e64 s0, 3, v23
	s_delay_alu instid0(VALU_DEP_4) | instskip(NEXT) | instid1(VALU_DEP_4)
	v_lshl_or_b32 v11, v10, 12, v16
	v_cmp_ne_u32_e64 s1, v8, v22
	v_lshrrev_b32_e32 v22, 16, v164
	s_delay_alu instid0(VALU_DEP_4)
	s_or_b32 vcc_lo, s0, vcc_lo
	s_wait_alu 0xfffe
	v_add_co_ci_u32_e32 v9, vcc_lo, 0, v9, vcc_lo
	v_cndmask_b32_e64 v8, 0, 1, s1
	v_cmp_ne_u32_e32 vcc_lo, 0, v12
	s_wait_dscnt 0x0
	v_lshrrev_b32_e32 v18, 16, v1
	v_mul_f64_e32 v[4:5], s[8:9], v[4:5]
	v_or_b32_e32 v8, v21, v8
	s_wait_alu 0xfffd
	v_cndmask_b32_e64 v12, 0, 1, vcc_lo
	v_cmp_gt_i32_e32 vcc_lo, 1, v10
	s_delay_alu instid0(VALU_DEP_2)
	v_lshl_or_b32 v12, v12, 9, 0x7c00
	s_wait_alu 0xfffd
	v_cndmask_b32_e32 v11, v11, v8, vcc_lo
	v_mul_f16_e32 v8, v22, v18
	v_cmp_gt_i32_e32 vcc_lo, 31, v13
	v_and_or_b32 v6, 0x1ff, v7, v6
	v_bfe_u32 v21, v7, 20, 11
	v_and_b32_e32 v20, 7, v11
	v_fmac_f16_e64 v8, v164, v1
	s_wait_alu 0xfffd
	v_cndmask_b32_e32 v9, 0x7c00, v9, vcc_lo
	v_cmp_eq_u32_e32 vcc_lo, 0x40f, v13
	v_cmp_ne_u32_e64 s0, 0, v6
	v_lshrrev_b32_e32 v11, 2, v11
	v_cvt_f32_f16_e32 v8, v8
	v_lshrrev_b32_e32 v13, 8, v7
	s_wait_alu 0xfffd
	v_cndmask_b32_e32 v12, v9, v12, vcc_lo
	v_cmp_lt_i32_e32 vcc_lo, 5, v20
	s_wait_alu 0xf1ff
	v_cndmask_b32_e64 v6, 0, 1, s0
	v_cvt_f64_f32_e32 v[8:9], v8
	v_cmp_eq_u32_e64 s0, 3, v20
	v_mul_f16_e32 v1, v22, v1
	v_and_or_b32 v12, 0x8000, v19, v12
	v_and_or_b32 v6, 0xffe, v13, v6
	v_sub_nc_u32_e32 v13, 0x3f1, v21
	s_or_b32 vcc_lo, s0, vcc_lo
	v_fma_f16 v1, v164, v18, -v1
	s_wait_alu 0xfffe
	v_add_co_ci_u32_e32 v11, vcc_lo, 0, v11, vcc_lo
	v_cmp_ne_u32_e32 vcc_lo, 0, v16
	v_or_b32_e32 v20, 0x1000, v6
	v_med3_i32 v13, v13, 0, 13
	v_and_or_b32 v4, 0x1ff, v5, v4
	v_cvt_f32_f16_e32 v1, v1
	s_wait_alu 0xfffd
	v_cndmask_b32_e64 v16, 0, 1, vcc_lo
	v_cmp_gt_i32_e32 vcc_lo, 31, v10
	v_lshrrev_b32_e32 v19, v13, v20
	v_bfe_u32 v18, v5, 20, 11
	v_lshrrev_b32_e32 v7, 16, v7
	v_lshl_or_b32 v16, v16, 9, 0x7c00
	s_wait_alu 0xfffd
	v_cndmask_b32_e32 v11, 0x7c00, v11, vcc_lo
	v_cmp_eq_u32_e32 vcc_lo, 0x40f, v10
	v_lshlrev_b32_e32 v10, v13, v19
	s_wait_alu 0xfffd
	s_delay_alu instid0(VALU_DEP_3) | instskip(SKIP_3) | instid1(VALU_DEP_4)
	v_cndmask_b32_e32 v16, v11, v16, vcc_lo
	v_cmp_ne_u32_e32 vcc_lo, 0, v4
	v_lshrrev_b32_e32 v11, 8, v5
	v_lshrrev_b32_e32 v5, 16, v5
	v_and_or_b32 v16, 0x8000, v17, v16
	s_wait_alu 0xfffd
	v_cndmask_b32_e64 v4, 0, 1, vcc_lo
	v_cmp_ne_u32_e32 vcc_lo, v10, v20
	v_add_nc_u32_e32 v20, 0xfffffc10, v21
	v_sub_nc_u32_e32 v21, 0x3f1, v18
	v_and_b32_e32 v17, 0xffff, v12
	v_and_or_b32 v4, 0xffe, v11, v4
	v_cvt_f64_f32_e32 v[10:11], v1
	s_wait_alu 0xfffd
	v_cndmask_b32_e64 v13, 0, 1, vcc_lo
	v_mul_f64_e32 v[8:9], s[8:9], v[8:9]
	v_cmp_gt_i32_e32 vcc_lo, 1, v20
	v_med3_i32 v21, v21, 0, 13
	v_lshl_or_b32 v23, v16, 16, v17
	v_or_b32_e32 v1, v19, v13
	v_lshl_or_b32 v13, v20, 12, v6
	v_or_b32_e32 v19, 0x1000, v4
	s_wait_alu 0xfffd
	s_delay_alu instid0(VALU_DEP_2) | instskip(SKIP_1) | instid1(VALU_DEP_3)
	v_dual_cndmask_b32 v1, v13, v1 :: v_dual_add_nc_u32 v18, 0xfffffc10, v18
	v_add_co_u32 v12, vcc_lo, v14, s2
	v_lshrrev_b32_e32 v22, v21, v19
	s_wait_alu 0xfffd
	v_add_co_ci_u32_e32 v13, vcc_lo, s3, v15, vcc_lo
	v_and_b32_e32 v16, 7, v1
	v_add_co_u32 v14, vcc_lo, v12, s2
	v_lshlrev_b32_e32 v17, v21, v22
	s_wait_alu 0xfffd
	v_add_co_ci_u32_e32 v15, vcc_lo, s3, v13, vcc_lo
	v_cmp_lt_i32_e32 vcc_lo, 5, v16
	v_cmp_eq_u32_e64 s0, 3, v16
	v_lshrrev_b32_e32 v1, 2, v1
	v_cmp_ne_u32_e64 s1, v17, v19
	v_lshrrev_b32_e32 v19, 16, v3
	v_lshl_or_b32 v21, v18, 12, v4
	s_or_b32 vcc_lo, s0, vcc_lo
	s_clause 0x1
	global_store_b32 v[12:13], v24, off
	global_store_b32 v[14:15], v23, off
	s_wait_alu 0xfffe
	v_add_co_ci_u32_e32 v1, vcc_lo, 0, v1, vcc_lo
	v_cndmask_b32_e64 v16, 0, 1, s1
	v_cmp_gt_i32_e32 vcc_lo, 31, v20
	v_mul_f16_e32 v17, v27, v19
	v_cmp_eq_u32_e64 s1, 0x40f, v20
	v_mul_f64_e32 v[10:11], s[8:9], v[10:11]
	v_or_b32_e32 v16, v22, v16
	s_wait_alu 0xfffd
	v_cndmask_b32_e32 v1, 0x7c00, v1, vcc_lo
	v_cmp_gt_i32_e32 vcc_lo, 1, v18
	v_fmac_f16_e64 v17, v163, v3
	v_and_or_b32 v8, 0x1ff, v9, v8
	v_lshrrev_b32_e32 v25, 8, v9
	v_bfe_u32 v26, v9, 20, 11
	s_wait_alu 0xfffd
	v_cndmask_b32_e32 v21, v21, v16, vcc_lo
	v_cmp_ne_u32_e32 vcc_lo, 0, v6
	v_cvt_f32_f16_e32 v16, v17
	v_mul_f16_e32 v3, v27, v3
	s_delay_alu instid0(VALU_DEP_4)
	v_and_b32_e32 v22, 7, v21
	s_wait_alu 0xfffd
	v_cndmask_b32_e64 v6, 0, 1, vcc_lo
	v_cmp_ne_u32_e32 vcc_lo, 0, v8
	v_cvt_f64_f32_e32 v[16:17], v16
	v_fma_f16 v3, v163, v19, -v3
	v_cmp_eq_u32_e64 s0, 3, v22
	v_lshl_or_b32 v6, v6, 9, 0x7c00
	s_wait_alu 0xfffd
	v_cndmask_b32_e64 v8, 0, 1, vcc_lo
	v_cmp_lt_i32_e32 vcc_lo, 5, v22
	v_sub_nc_u32_e32 v22, 0x3f1, v26
	v_cvt_f32_f16_e32 v3, v3
	s_wait_alu 0xf1ff
	v_cndmask_b32_e64 v1, v1, v6, s1
	v_lshrrev_b32_e32 v6, 2, v21
	v_and_or_b32 v8, 0xffe, v25, v8
	s_or_b32 vcc_lo, s0, vcc_lo
	v_med3_i32 v21, v22, 0, 13
	v_and_or_b32 v1, 0x8000, v7, v1
	s_wait_alu 0xfffe
	v_add_co_ci_u32_e32 v6, vcc_lo, 0, v6, vcc_lo
	v_or_b32_e32 v20, 0x1000, v8
	v_cmp_ne_u32_e32 vcc_lo, 0, v4
	v_and_b32_e32 v1, 0xffff, v1
	v_lshrrev_b32_e32 v25, 16, v159
	s_delay_alu instid0(VALU_DEP_4) | instskip(SKIP_3) | instid1(VALU_DEP_3)
	v_lshrrev_b32_e32 v22, v21, v20
	s_wait_alu 0xfffd
	v_cndmask_b32_e64 v4, 0, 1, vcc_lo
	v_cmp_gt_i32_e32 vcc_lo, 31, v18
	v_lshlrev_b32_e32 v7, v21, v22
	s_delay_alu instid0(VALU_DEP_3)
	v_lshl_or_b32 v4, v4, 9, 0x7c00
	s_wait_alu 0xfffd
	v_cndmask_b32_e32 v6, 0x7c00, v6, vcc_lo
	v_cmp_eq_u32_e32 vcc_lo, 0x40f, v18
	v_add_nc_u32_e32 v18, 0xfffffc10, v26
	v_bfe_u32 v21, v11, 20, 11
	s_wait_alu 0xfffd
	v_cndmask_b32_e32 v4, v6, v4, vcc_lo
	v_and_or_b32 v6, 0x1ff, v11, v10
	v_cmp_ne_u32_e32 vcc_lo, v7, v20
	v_lshrrev_b32_e32 v20, 8, v11
	v_cmp_eq_u32_e64 s1, 0x40f, v18
	v_and_or_b32 v4, 0x8000, v5, v4
	v_lshrrev_b32_e32 v11, 16, v11
	s_wait_alu 0xfffd
	v_cndmask_b32_e64 v10, 0, 1, vcc_lo
	v_cmp_ne_u32_e32 vcc_lo, 0, v6
	v_mul_f64_e32 v[6:7], s[8:9], v[16:17]
	v_cvt_f64_f32_e32 v[16:17], v3
	s_delay_alu instid0(VALU_DEP_4)
	v_or_b32_e32 v3, v22, v10
	s_wait_alu 0xfffd
	v_cndmask_b32_e64 v19, 0, 1, vcc_lo
	v_lshl_or_b32 v10, v18, 12, v8
	v_cmp_gt_i32_e32 vcc_lo, 1, v18
	v_lshl_or_b32 v22, v4, 16, v1
	s_delay_alu instid0(VALU_DEP_4) | instskip(SKIP_3) | instid1(VALU_DEP_3)
	v_and_or_b32 v19, 0xffe, v20, v19
	v_sub_nc_u32_e32 v20, 0x3f1, v21
	s_wait_alu 0xfffd
	v_cndmask_b32_e32 v3, v10, v3, vcc_lo
	v_or_b32_e32 v5, 0x1000, v19
	s_delay_alu instid0(VALU_DEP_3) | instskip(NEXT) | instid1(VALU_DEP_3)
	v_med3_i32 v10, v20, 0, 13
	v_and_b32_e32 v20, 7, v3
	v_lshrrev_b32_e32 v1, 2, v3
	ds_load_2addr_b32 v[3:4], v116 offset0:126 offset1:189
	v_lshrrev_b32_e32 v12, v10, v5
	v_cmp_lt_i32_e32 vcc_lo, 5, v20
	v_cmp_eq_u32_e64 s0, 3, v20
	s_delay_alu instid0(VALU_DEP_3) | instskip(NEXT) | instid1(VALU_DEP_2)
	v_lshlrev_b32_e32 v10, v10, v12
	s_or_b32 vcc_lo, s0, vcc_lo
	s_wait_alu 0xfffe
	v_add_co_ci_u32_e32 v1, vcc_lo, 0, v1, vcc_lo
	s_delay_alu instid0(VALU_DEP_2) | instskip(SKIP_4) | instid1(VALU_DEP_3)
	v_cmp_ne_u32_e32 vcc_lo, v10, v5
	v_add_nc_u32_e32 v10, 0xfffffc10, v21
	s_wait_alu 0xfffd
	v_cndmask_b32_e64 v5, 0, 1, vcc_lo
	v_cmp_gt_i32_e32 vcc_lo, 31, v18
	v_lshl_or_b32 v13, v10, 12, v19
	v_and_or_b32 v20, 0x1ff, v7, v6
	s_delay_alu instid0(VALU_DEP_4)
	v_or_b32_e32 v12, v12, v5
	s_wait_alu 0xfffd
	v_cndmask_b32_e32 v1, 0x7c00, v1, vcc_lo
	v_cmp_ne_u32_e32 vcc_lo, 0, v8
	v_mul_f64_e32 v[5:6], s[8:9], v[16:17]
	s_wait_dscnt 0x0
	v_lshrrev_b32_e32 v16, 16, v3
	v_lshrrev_b32_e32 v17, 8, v7
	s_wait_alu 0xfffd
	v_cndmask_b32_e64 v8, 0, 1, vcc_lo
	v_cmp_gt_i32_e32 vcc_lo, 1, v10
	v_mul_f16_e32 v21, v25, v16
	s_delay_alu instid0(VALU_DEP_3)
	v_lshl_or_b32 v8, v8, 9, 0x7c00
	s_wait_alu 0xfffd
	v_cndmask_b32_e32 v12, v13, v12, vcc_lo
	v_cmp_ne_u32_e32 vcc_lo, 0, v20
	v_bfe_u32 v20, v7, 20, 11
	v_fmac_f16_e64 v21, v159, v3
	v_cndmask_b32_e64 v1, v1, v8, s1
	v_and_b32_e32 v23, 7, v12
	s_wait_alu 0xfffd
	v_cndmask_b32_e64 v13, 0, 1, vcc_lo
	v_lshrrev_b32_e32 v8, 2, v12
	v_mul_f16_e32 v3, v25, v3
	v_lshrrev_b32_e32 v7, 16, v7
	v_cmp_lt_i32_e32 vcc_lo, 5, v23
	v_and_or_b32 v17, 0xffe, v17, v13
	v_sub_nc_u32_e32 v13, 0x3f1, v20
	v_cmp_eq_u32_e64 s0, 3, v23
	v_fma_f16 v3, v159, v16, -v3
	v_add_nc_u32_e32 v20, 0xfffffc10, v20
	v_or_b32_e32 v23, 0x1000, v17
	v_med3_i32 v24, v13, 0, 13
	s_or_b32 vcc_lo, s0, vcc_lo
	v_cvt_f32_f16_e32 v13, v21
	s_wait_alu 0xfffe
	v_add_co_ci_u32_e32 v8, vcc_lo, 0, v8, vcc_lo
	v_lshrrev_b32_e32 v18, v24, v23
	v_cmp_ne_u32_e32 vcc_lo, 0, v19
	v_cvt_f64_f32_e32 v[12:13], v13
	v_lshrrev_b32_e32 v21, 16, v9
	v_cvt_f32_f16_e32 v3, v3
	v_lshlrev_b32_e32 v9, v24, v18
	s_wait_alu 0xfffd
	v_cndmask_b32_e64 v19, 0, 1, vcc_lo
	v_cmp_gt_i32_e32 vcc_lo, 31, v10
	v_and_or_b32 v5, 0x1ff, v6, v5
	v_and_or_b32 v1, 0x8000, v21, v1
	v_lshrrev_b32_e32 v24, 16, v2
	v_lshl_or_b32 v19, v19, 9, 0x7c00
	s_wait_alu 0xfffd
	v_cndmask_b32_e32 v8, 0x7c00, v8, vcc_lo
	v_cmp_ne_u32_e32 vcc_lo, v9, v23
	v_bfe_u32 v23, v6, 20, 11
	v_and_b32_e32 v1, 0xffff, v1
	s_wait_alu 0xfffd
	v_cndmask_b32_e64 v9, 0, 1, vcc_lo
	v_cmp_eq_u32_e32 vcc_lo, 0x40f, v10
	s_delay_alu instid0(VALU_DEP_2)
	v_or_b32_e32 v16, v18, v9
	s_wait_alu 0xfffd
	v_cndmask_b32_e32 v10, v8, v19, vcc_lo
	v_cmp_ne_u32_e32 vcc_lo, 0, v5
	v_lshl_or_b32 v18, v20, 12, v17
	v_lshrrev_b32_e32 v19, 8, v6
	v_cvt_f64_f32_e32 v[8:9], v3
	s_wait_alu 0xfffd
	v_cndmask_b32_e64 v5, 0, 1, vcc_lo
	v_cmp_gt_i32_e32 vcc_lo, 1, v20
	s_delay_alu instid0(VALU_DEP_2)
	v_and_or_b32 v5, 0xffe, v19, v5
	s_wait_alu 0xfffd
	v_cndmask_b32_e32 v3, v18, v16, vcc_lo
	v_sub_nc_u32_e32 v16, 0x3f1, v23
	v_and_or_b32 v19, 0x8000, v11, v10
	v_or_b32_e32 v21, 0x1000, v5
	s_delay_alu instid0(VALU_DEP_4) | instskip(NEXT) | instid1(VALU_DEP_4)
	v_and_b32_e32 v18, 7, v3
	v_med3_i32 v16, v16, 0, 13
	v_mul_f64_e32 v[10:11], s[8:9], v[12:13]
	v_lshrrev_b32_e32 v3, 2, v3
	v_lshl_or_b32 v19, v19, 16, v1
	v_cmp_lt_i32_e32 vcc_lo, 5, v18
	v_cmp_eq_u32_e64 s0, 3, v18
	v_lshrrev_b32_e32 v18, v16, v21
	v_add_co_u32 v12, s1, v14, s4
	s_wait_alu 0xf1ff
	v_add_co_ci_u32_e64 v13, s1, s5, v15, s1
	s_or_b32 vcc_lo, s0, vcc_lo
	v_lshlrev_b32_e32 v1, v16, v18
	s_wait_alu 0xfffe
	v_add_co_ci_u32_e32 v3, vcc_lo, 0, v3, vcc_lo
	v_cmp_ne_u32_e32 vcc_lo, 0, v17
	s_wait_alu 0xfffd
	v_cndmask_b32_e64 v14, 0, 1, vcc_lo
	v_cmp_ne_u32_e32 vcc_lo, v1, v21
	v_add_nc_u32_e32 v21, 0xfffffc10, v23
	v_lshrrev_b32_e32 v23, 16, v153
	v_mul_f64_e32 v[8:9], s[8:9], v[8:9]
	v_lshl_or_b32 v14, v14, 9, 0x7c00
	s_wait_alu 0xfffd
	v_cndmask_b32_e64 v1, 0, 1, vcc_lo
	v_cmp_gt_i32_e32 vcc_lo, 31, v20
	v_mul_f16_e32 v15, v23, v24
	v_lshl_or_b32 v16, v21, 12, v5
	s_delay_alu instid0(VALU_DEP_4)
	v_or_b32_e32 v1, v18, v1
	s_wait_alu 0xfffd
	v_cndmask_b32_e32 v3, 0x7c00, v3, vcc_lo
	v_fmac_f16_e64 v15, v153, v2
	v_cmp_gt_i32_e32 vcc_lo, 1, v21
	v_mul_f16_e32 v2, v23, v2
	s_delay_alu instid0(VALU_DEP_3)
	v_cvt_f32_f16_e32 v15, v15
	s_wait_alu 0xfffd
	v_cndmask_b32_e32 v1, v16, v1, vcc_lo
	v_cmp_eq_u32_e32 vcc_lo, 0x40f, v20
	v_and_or_b32 v10, 0x1ff, v11, v10
	v_fma_f16 v2, v153, v24, -v2
	v_lshrrev_b32_e32 v24, 16, v6
	s_wait_alu 0xfffd
	v_dual_cndmask_b32 v3, v3, v14 :: v_dual_and_b32 v18, 7, v1
	v_cvt_f64_f32_e32 v[14:15], v15
	v_add_co_u32 v16, vcc_lo, v12, s2
	v_cmp_ne_u32_e64 s1, 0, v10
	s_wait_alu 0xfffd
	v_add_co_ci_u32_e32 v17, vcc_lo, s3, v13, vcc_lo
	v_cmp_lt_i32_e32 vcc_lo, 5, v18
	v_cmp_eq_u32_e64 s0, 3, v18
	v_lshrrev_b32_e32 v1, 2, v1
	v_and_or_b32 v3, 0x8000, v7, v3
	s_wait_alu 0xf1ff
	v_cndmask_b32_e64 v7, 0, 1, s1
	v_lshrrev_b32_e32 v10, 8, v11
	v_bfe_u32 v18, v11, 20, 11
	s_or_b32 vcc_lo, s0, vcc_lo
	v_cvt_f32_f16_e32 v2, v2
	s_wait_alu 0xfffe
	v_add_co_ci_u32_e32 v1, vcc_lo, 0, v1, vcc_lo
	v_and_or_b32 v10, 0xffe, v10, v7
	v_sub_nc_u32_e32 v7, 0x3f1, v18
	v_cmp_ne_u32_e32 vcc_lo, 0, v5
	v_and_or_b32 v8, 0x1ff, v9, v8
	v_lshrrev_b32_e32 v25, 8, v9
	v_or_b32_e32 v20, 0x1000, v10
	v_med3_i32 v7, v7, 0, 13
	s_wait_alu 0xfffd
	v_cndmask_b32_e64 v5, 0, 1, vcc_lo
	v_cmp_gt_i32_e32 vcc_lo, 31, v21
	v_add_nc_u32_e32 v18, 0xfffffc10, v18
	v_and_b32_e32 v3, 0xffff, v3
	v_lshrrev_b32_e32 v23, v7, v20
	v_lshl_or_b32 v5, v5, 9, 0x7c00
	s_wait_alu 0xfffd
	v_cndmask_b32_e32 v1, 0x7c00, v1, vcc_lo
	v_cmp_eq_u32_e32 vcc_lo, 0x40f, v21
	s_wait_alu 0xfffd
	s_delay_alu instid0(VALU_DEP_2)
	v_cndmask_b32_e32 v21, v1, v5, vcc_lo
	v_cvt_f64_f32_e32 v[5:6], v2
	v_lshlrev_b32_e32 v1, v7, v23
	v_cmp_ne_u32_e32 vcc_lo, 0, v8
	v_mul_f64_e32 v[7:8], s[8:9], v[14:15]
	v_bfe_u32 v14, v9, 20, 11
	v_add_nc_u32_e32 v15, 0x1200, v116
	v_and_or_b32 v21, 0x8000, v24, v21
	s_wait_alu 0xfffd
	v_cndmask_b32_e64 v2, 0, 1, vcc_lo
	v_cmp_ne_u32_e32 vcc_lo, v1, v20
	v_lshrrev_b32_e32 v9, 16, v9
	v_lshl_or_b32 v3, v21, 16, v3
	s_delay_alu instid0(VALU_DEP_4)
	v_and_or_b32 v20, 0xffe, v25, v2
	s_wait_alu 0xfffd
	v_cndmask_b32_e64 v1, 0, 1, vcc_lo
	v_sub_nc_u32_e32 v25, 0x3f1, v14
	v_cmp_gt_i32_e32 vcc_lo, 1, v18
	v_or_b32_e32 v26, 0x1000, v20
	s_delay_alu instid0(VALU_DEP_4)
	v_or_b32_e32 v23, v23, v1
	ds_load_2addr_b32 v[1:2], v15 offset0:108 offset1:171
	v_lshl_or_b32 v15, v18, 12, v10
	v_med3_i32 v25, v25, 0, 13
	s_clause 0x1
	global_store_b32 v[12:13], v22, off
	global_store_b32 v[16:17], v19, off
	s_wait_alu 0xfffd
	v_cndmask_b32_e32 v15, v15, v23, vcc_lo
	v_lshrrev_b32_e32 v23, v25, v26
	v_add_co_u32 v12, vcc_lo, v16, s2
	s_wait_alu 0xfffd
	v_add_co_ci_u32_e32 v13, vcc_lo, s3, v17, vcc_lo
	s_delay_alu instid0(VALU_DEP_3)
	v_lshlrev_b32_e32 v21, v25, v23
	v_and_b32_e32 v19, 7, v15
	v_lshrrev_b32_e32 v15, 2, v15
	global_store_b32 v[12:13], v3, off
	v_cmp_ne_u32_e64 s1, v21, v26
	v_cmp_lt_i32_e32 vcc_lo, 5, v19
	v_cmp_eq_u32_e64 s0, 3, v19
	v_add_nc_u32_e32 v19, 0xfffffc10, v14
	s_wait_dscnt 0x0
	v_lshrrev_b32_e32 v16, 16, v1
	s_wait_alu 0xf1ff
	v_cndmask_b32_e64 v17, 0, 1, s1
	v_mul_f64_e32 v[5:6], s[8:9], v[5:6]
	s_or_b32 vcc_lo, s0, vcc_lo
	v_lshrrev_b32_e32 v26, 16, v152
	s_wait_alu 0xfffe
	v_add_co_ci_u32_e32 v22, vcc_lo, 0, v15, vcc_lo
	v_or_b32_e32 v17, v23, v17
	v_lshl_or_b32 v21, v19, 12, v20
	v_and_or_b32 v7, 0x1ff, v8, v7
	v_cmp_gt_i32_e32 vcc_lo, 1, v19
	v_mul_f16_e32 v14, v26, v16
	v_bfe_u32 v23, v8, 20, 11
	v_cmp_eq_u32_e64 s1, 0x40f, v18
	s_wait_alu 0xfffd
	v_cndmask_b32_e32 v17, v21, v17, vcc_lo
	v_cmp_ne_u32_e32 vcc_lo, 0, v7
	v_fmac_f16_e64 v14, v152, v1
	v_lshrrev_b32_e32 v21, 8, v8
	v_mul_f16_e32 v1, v26, v1
	v_and_b32_e32 v24, 7, v17
	s_wait_alu 0xfffd
	v_cndmask_b32_e64 v7, 0, 1, vcc_lo
	v_cmp_ne_u32_e32 vcc_lo, 0, v10
	v_cvt_f32_f16_e32 v14, v14
	v_fma_f16 v1, v152, v16, -v1
	v_cmp_eq_u32_e64 s0, 3, v24
	v_and_or_b32 v7, 0xffe, v21, v7
	s_wait_alu 0xfffd
	v_cndmask_b32_e64 v10, 0, 1, vcc_lo
	v_cmp_gt_i32_e32 vcc_lo, 31, v18
	v_sub_nc_u32_e32 v21, 0x3f1, v23
	v_cvt_f64_f32_e32 v[14:15], v14
	v_or_b32_e32 v25, 0x1000, v7
	v_lshl_or_b32 v10, v10, 9, 0x7c00
	s_wait_alu 0xfffd
	v_cndmask_b32_e32 v22, 0x7c00, v22, vcc_lo
	v_med3_i32 v21, v21, 0, 13
	v_cmp_lt_i32_e32 vcc_lo, 5, v24
	v_cvt_f32_f16_e32 v1, v1
	v_lshrrev_b32_e32 v8, 16, v8
	s_wait_alu 0xf1ff
	v_cndmask_b32_e64 v18, v22, v10, s1
	v_lshrrev_b32_e32 v10, 2, v17
	v_lshrrev_b32_e32 v17, v21, v25
	s_or_b32 vcc_lo, s0, vcc_lo
	v_and_or_b32 v5, 0x1ff, v6, v5
	v_lshrrev_b32_e32 v22, 16, v11
	s_wait_alu 0xfffe
	v_add_co_ci_u32_e32 v24, vcc_lo, 0, v10, vcc_lo
	v_lshlrev_b32_e32 v10, v21, v17
	v_cmp_ne_u32_e32 vcc_lo, 0, v20
	v_lshrrev_b32_e32 v11, 8, v6
	v_bfe_u32 v16, v6, 20, 11
	v_add_nc_u32_e32 v21, 0xfffffc10, v23
	v_and_or_b32 v18, 0x8000, v22, v18
	s_wait_alu 0xfffd
	v_cndmask_b32_e64 v20, 0, 1, vcc_lo
	v_cmp_ne_u32_e32 vcc_lo, v10, v25
	v_sub_nc_u32_e32 v23, 0x3f1, v16
	v_lshl_or_b32 v25, v21, 12, v7
	v_add_nc_u32_e32 v16, 0xfffffc10, v16
	v_lshl_or_b32 v20, v20, 9, 0x7c00
	s_wait_alu 0xfffd
	v_cndmask_b32_e64 v10, 0, 1, vcc_lo
	v_cmp_ne_u32_e32 vcc_lo, 0, v5
	v_add_co_u32 v12, s1, v12, s4
	s_wait_alu 0xf1ff
	v_add_co_ci_u32_e64 v13, s1, s5, v13, s1
	s_wait_alu 0xfffd
	v_cndmask_b32_e64 v5, 0, 1, vcc_lo
	v_or_b32_e32 v17, v17, v10
	v_cmp_gt_i32_e32 vcc_lo, 31, v19
	s_delay_alu instid0(VALU_DEP_3)
	v_and_or_b32 v5, 0xffe, v11, v5
	v_mul_f64_e32 v[10:11], s[8:9], v[14:15]
	v_cvt_f64_f32_e32 v[14:15], v1
	v_med3_i32 v1, v23, 0, 13
	s_wait_alu 0xfffd
	v_cndmask_b32_e32 v23, 0x7c00, v24, vcc_lo
	v_or_b32_e32 v26, 0x1000, v5
	v_cmp_gt_i32_e32 vcc_lo, 1, v21
	s_delay_alu instid0(VALU_DEP_2)
	v_lshrrev_b32_e32 v24, v1, v26
	s_wait_alu 0xfffd
	v_cndmask_b32_e32 v17, v25, v17, vcc_lo
	scratch_load_b32 v25, off, off offset:120 th:TH_LOAD_LU ; 4-byte Folded Reload
	v_cmp_eq_u32_e32 vcc_lo, 0x40f, v19
	v_lshlrev_b32_e32 v1, v1, v24
	s_wait_alu 0xfffd
	v_dual_cndmask_b32 v19, v23, v20 :: v_dual_and_b32 v20, 7, v17
	s_delay_alu instid0(VALU_DEP_2)
	v_cmp_ne_u32_e64 s0, v1, v26
	scratch_load_b32 v26, off, off offset:132 th:TH_LOAD_LU ; 4-byte Folded Reload
	v_lshrrev_b32_e32 v23, 16, v150
	v_and_or_b32 v3, 0x8000, v9, v19
	v_and_b32_e32 v9, 0xffff, v18
	v_cmp_lt_i32_e32 vcc_lo, 5, v20
	s_wait_alu 0xf1ff
	v_cndmask_b32_e64 v1, 0, 1, s0
	v_cmp_eq_u32_e64 s0, 3, v20
	v_lshrrev_b32_e32 v19, 16, v4
	v_lshl_or_b32 v20, v3, 16, v9
	v_lshrrev_b32_e32 v3, 2, v17
	v_or_b32_e32 v1, v24, v1
	s_or_b32 vcc_lo, s0, vcc_lo
	v_lshl_or_b32 v9, v16, 12, v5
	v_mul_f16_e32 v22, v23, v19
	s_wait_alu 0xfffe
	v_add_co_ci_u32_e32 v3, vcc_lo, 0, v3, vcc_lo
	v_cmp_ne_u32_e32 vcc_lo, 0, v7
	v_and_or_b32 v17, 0x1ff, v11, v10
	v_fmac_f16_e64 v22, v150, v4
	v_mul_f16_e32 v4, v23, v4
	s_wait_alu 0xfffd
	v_cndmask_b32_e64 v7, 0, 1, vcc_lo
	v_cmp_gt_i32_e32 vcc_lo, 1, v16
	s_delay_alu instid0(VALU_DEP_3) | instskip(NEXT) | instid1(VALU_DEP_3)
	v_fma_f16 v4, v150, v19, -v4
	v_lshl_or_b32 v7, v7, 9, 0x7c00
	s_wait_alu 0xfffd
	v_cndmask_b32_e32 v1, v9, v1, vcc_lo
	v_cmp_gt_i32_e32 vcc_lo, 31, v21
	v_mul_f64_e32 v[9:10], s[8:9], v[14:15]
	v_lshrrev_b32_e32 v15, 8, v11
	v_cvt_f32_f16_e32 v4, v4
	s_wait_alu 0xfffd
	v_dual_cndmask_b32 v3, 0x7c00, v3 :: v_dual_and_b32 v18, 7, v1
	v_cmp_ne_u32_e32 vcc_lo, 0, v17
	v_bfe_u32 v17, v11, 20, 11
	v_lshrrev_b32_e32 v1, 2, v1
	s_delay_alu instid0(VALU_DEP_4) | instskip(SKIP_4) | instid1(VALU_DEP_2)
	v_cmp_eq_u32_e64 s0, 3, v18
	v_lshrrev_b32_e32 v11, 16, v11
	s_wait_alu 0xfffd
	v_cndmask_b32_e64 v14, 0, 1, vcc_lo
	v_cmp_eq_u32_e32 vcc_lo, 0x40f, v21
	v_and_or_b32 v21, 0xffe, v15, v14
	s_wait_alu 0xfffd
	v_cndmask_b32_e32 v3, v3, v7, vcc_lo
	v_cmp_lt_i32_e32 vcc_lo, 5, v18
	v_sub_nc_u32_e32 v7, 0x3f1, v17
	v_cvt_f32_f16_e32 v14, v22
	v_or_b32_e32 v18, 0x1000, v21
	v_and_or_b32 v3, 0x8000, v8, v3
	s_or_b32 vcc_lo, s0, vcc_lo
	v_med3_i32 v7, v7, 0, 13
	s_wait_alu 0xfffe
	v_add_co_ci_u32_e32 v1, vcc_lo, 0, v1, vcc_lo
	v_cvt_f64_f32_e32 v[14:15], v14
	v_cmp_ne_u32_e32 vcc_lo, 0, v5
	v_lshrrev_b32_e32 v22, v7, v18
	v_lshrrev_b32_e32 v8, 16, v6
	s_wait_alu 0xfffd
	v_cndmask_b32_e64 v5, 0, 1, vcc_lo
	v_cmp_gt_i32_e32 vcc_lo, 31, v16
	v_lshlrev_b32_e32 v7, v7, v22
	s_delay_alu instid0(VALU_DEP_3)
	v_lshl_or_b32 v5, v5, 9, 0x7c00
	s_wait_alu 0xfffd
	v_cndmask_b32_e32 v1, 0x7c00, v1, vcc_lo
	v_cmp_eq_u32_e32 vcc_lo, 0x40f, v16
	v_add_nc_u32_e32 v16, 0xfffffc10, v17
	v_bfe_u32 v19, v10, 20, 11
	s_wait_alu 0xfffd
	v_cndmask_b32_e32 v1, v1, v5, vcc_lo
	v_cmp_ne_u32_e32 vcc_lo, v7, v18
	v_and_or_b32 v7, 0x1ff, v10, v9
	v_lshrrev_b32_e32 v18, 8, v10
	v_lshl_or_b32 v17, v16, 12, v21
	v_and_or_b32 v1, 0x8000, v8, v1
	s_wait_alu 0xfffd
	v_cndmask_b32_e64 v5, 0, 1, vcc_lo
	v_cmp_ne_u32_e32 vcc_lo, 0, v7
	v_lshrrev_b32_e32 v10, 16, v10
	s_delay_alu instid0(VALU_DEP_3)
	v_or_b32_e32 v9, v22, v5
	v_cvt_f64_f32_e32 v[5:6], v4
	s_wait_alu 0xfffd
	v_cndmask_b32_e64 v7, 0, 1, vcc_lo
	v_cmp_gt_i32_e32 vcc_lo, 1, v16
	v_sub_nc_u32_e32 v4, 0x3f1, v19
	v_and_b32_e32 v22, 0xffff, v3
	s_delay_alu instid0(VALU_DEP_4)
	v_and_or_b32 v18, 0xffe, v18, v7
	v_add_nc_u32_e32 v7, 0xa00, v116
	s_wait_alu 0xfffd
	v_cndmask_b32_e32 v9, v17, v9, vcc_lo
	v_med3_i32 v24, v4, 0, 13
	v_lshl_or_b32 v1, v1, 16, v22
	v_or_b32_e32 v23, 0x1000, v18
	ds_load_2addr_b32 v[3:4], v7 offset0:116 offset1:179
	v_mul_f64_e32 v[7:8], s[8:9], v[14:15]
	v_and_b32_e32 v17, 7, v9
	v_lshrrev_b32_e32 v9, 2, v9
	v_lshrrev_b32_e32 v14, v24, v23
	s_delay_alu instid0(VALU_DEP_3) | instskip(SKIP_1) | instid1(VALU_DEP_3)
	v_cmp_lt_i32_e32 vcc_lo, 5, v17
	v_cmp_eq_u32_e64 s0, 3, v17
	v_lshlrev_b32_e32 v15, v24, v14
	s_delay_alu instid0(VALU_DEP_2)
	s_or_b32 vcc_lo, s0, vcc_lo
	s_wait_alu 0xfffe
	v_add_co_ci_u32_e32 v9, vcc_lo, 0, v9, vcc_lo
	v_cmp_ne_u32_e32 vcc_lo, 0, v21
	v_add_nc_u32_e32 v21, 0xfffffc10, v19
	s_wait_dscnt 0x0
	v_lshrrev_b32_e32 v19, 16, v3
	s_wait_alu 0xfffd
	v_cndmask_b32_e64 v17, 0, 1, vcc_lo
	v_cmp_ne_u32_e32 vcc_lo, v15, v23
	v_mul_f64_e32 v[5:6], s[8:9], v[5:6]
	s_delay_alu instid0(VALU_DEP_3) | instskip(SKIP_3) | instid1(VALU_DEP_2)
	v_lshl_or_b32 v17, v17, 9, 0x7c00
	s_wait_alu 0xfffd
	v_cndmask_b32_e64 v15, 0, 1, vcc_lo
	v_cmp_gt_i32_e32 vcc_lo, 31, v16
	v_or_b32_e32 v14, v14, v15
	s_wait_alu 0xfffd
	v_cndmask_b32_e32 v9, 0x7c00, v9, vcc_lo
	v_lshl_or_b32 v15, v21, 12, v18
	v_cmp_gt_i32_e32 vcc_lo, 1, v21
	v_and_or_b32 v7, 0x1ff, v8, v7
	s_wait_alu 0xfffd
	s_delay_alu instid0(VALU_DEP_3) | instskip(SKIP_1) | instid1(VALU_DEP_3)
	v_cndmask_b32_e32 v23, v15, v14, vcc_lo
	v_cmp_eq_u32_e32 vcc_lo, 0x40f, v16
	v_cmp_ne_u32_e64 s1, 0, v7
	s_wait_alu 0xfffd
	s_delay_alu instid0(VALU_DEP_3) | instskip(SKIP_3) | instid1(VALU_DEP_3)
	v_dual_cndmask_b32 v9, v9, v17 :: v_dual_and_b32 v24, 7, v23
	v_add_co_u32 v14, vcc_lo, v12, s2
	s_wait_alu 0xfffd
	v_add_co_ci_u32_e32 v15, vcc_lo, s3, v13, vcc_lo
	v_cmp_lt_i32_e32 vcc_lo, 5, v24
	v_cmp_eq_u32_e64 s0, 3, v24
	v_and_or_b32 v9, 0x8000, v11, v9
	v_lshrrev_b32_e32 v11, 2, v23
	s_wait_alu 0xf1ff
	v_cndmask_b32_e64 v7, 0, 1, s1
	v_bfe_u32 v23, v8, 20, 11
	s_or_b32 vcc_lo, s0, vcc_lo
	v_and_b32_e32 v9, 0xffff, v9
	s_wait_alu 0xfffe
	v_add_co_ci_u32_e32 v11, vcc_lo, 0, v11, vcc_lo
	v_cmp_ne_u32_e32 vcc_lo, 0, v18
	global_store_b32 v[12:13], v20, off
	global_store_b32 v[14:15], v1, off
	v_and_or_b32 v5, 0x1ff, v6, v5
	s_wait_alu 0xfffd
	v_cndmask_b32_e64 v18, 0, 1, vcc_lo
	v_cmp_gt_i32_e32 vcc_lo, 31, v21
	s_wait_alu 0xfffd
	v_cndmask_b32_e32 v11, 0x7c00, v11, vcc_lo
	v_cmp_eq_u32_e32 vcc_lo, 0x40f, v21
	v_lshrrev_b32_e32 v21, 8, v6
	s_wait_loadcnt 0x0
	v_mul_f16_e32 v22, v26, v19
	s_delay_alu instid0(VALU_DEP_1) | instskip(SKIP_1) | instid1(VALU_DEP_2)
	v_fmac_f16_e32 v22, v25, v3
	v_mul_f16_e32 v3, v26, v3
	v_cvt_f32_f16_e32 v16, v22
	v_lshrrev_b32_e32 v22, 8, v8
	s_delay_alu instid0(VALU_DEP_3) | instskip(SKIP_1) | instid1(VALU_DEP_4)
	v_fma_f16 v3, v25, v19, -v3
	v_lshl_or_b32 v25, v18, 9, 0x7c00
	v_cvt_f64_f32_e32 v[16:17], v16
	s_delay_alu instid0(VALU_DEP_4) | instskip(SKIP_3) | instid1(VALU_DEP_4)
	v_and_or_b32 v7, 0xffe, v22, v7
	v_sub_nc_u32_e32 v22, 0x3f1, v23
	v_cvt_f32_f16_e32 v3, v3
	v_add_nc_u32_e32 v23, 0xfffffc10, v23
	v_or_b32_e32 v24, 0x1000, v7
	s_delay_alu instid0(VALU_DEP_4) | instskip(NEXT) | instid1(VALU_DEP_4)
	v_med3_i32 v22, v22, 0, 13
	v_cvt_f64_f32_e32 v[18:19], v3
	s_wait_alu 0xfffd
	v_cndmask_b32_e32 v3, v11, v25, vcc_lo
	v_cmp_ne_u32_e32 vcc_lo, 0, v5
	v_lshrrev_b32_e32 v26, v22, v24
	s_delay_alu instid0(VALU_DEP_3) | instskip(SKIP_2) | instid1(VALU_DEP_3)
	v_and_or_b32 v3, 0x8000, v10, v3
	s_wait_alu 0xfffd
	v_cndmask_b32_e64 v5, 0, 1, vcc_lo
	v_lshlrev_b32_e32 v11, v22, v26
	v_bfe_u32 v22, v6, 20, 11
	v_lshl_or_b32 v1, v3, 16, v9
	s_delay_alu instid0(VALU_DEP_4)
	v_and_or_b32 v5, 0xffe, v21, v5
	v_lshrrev_b32_e32 v6, 16, v6
	v_cmp_ne_u32_e32 vcc_lo, v11, v24
	v_lshl_or_b32 v24, v23, 12, v7
	v_sub_nc_u32_e32 v21, 0x3f1, v22
	v_or_b32_e32 v25, 0x1000, v5
	s_wait_alu 0xfffd
	v_cndmask_b32_e64 v11, 0, 1, vcc_lo
	v_cmp_gt_i32_e32 vcc_lo, 1, v23
	v_med3_i32 v21, v21, 0, 13
	s_delay_alu instid0(VALU_DEP_3) | instskip(SKIP_1) | instid1(VALU_DEP_1)
	v_or_b32_e32 v11, v26, v11
	s_wait_alu 0xfffd
	v_cndmask_b32_e32 v11, v24, v11, vcc_lo
	v_add_co_u32 v9, vcc_lo, v14, s2
	s_wait_alu 0xfffd
	v_add_co_ci_u32_e32 v10, vcc_lo, s3, v15, vcc_lo
	s_delay_alu instid0(VALU_DEP_3)
	v_and_b32_e32 v3, 7, v11
	v_lshrrev_b32_e32 v24, v21, v25
	v_add_nc_u32_e32 v15, 0xfffffc10, v22
	v_mul_f64_e32 v[16:17], s[8:9], v[16:17]
	global_store_b32 v[9:10], v1, off
	v_cmp_lt_i32_e32 vcc_lo, 5, v3
	v_cmp_eq_u32_e64 s0, 3, v3
	v_lshrrev_b32_e32 v3, 2, v11
	v_lshl_or_b32 v14, v15, 12, v5
	s_delay_alu instid0(VALU_DEP_3) | instskip(SKIP_1) | instid1(VALU_DEP_2)
	s_or_b32 vcc_lo, s0, vcc_lo
	s_wait_alu 0xfffe
	v_add_co_ci_u32_e32 v3, vcc_lo, 0, v3, vcc_lo
	v_cmp_ne_u32_e32 vcc_lo, 0, v7
	s_wait_alu 0xfffd
	v_cndmask_b32_e64 v7, 0, 1, vcc_lo
	v_cmp_gt_i32_e32 vcc_lo, 1, v15
	v_lshlrev_b32_e32 v12, v21, v24
	s_delay_alu instid0(VALU_DEP_3) | instskip(NEXT) | instid1(VALU_DEP_2)
	v_lshl_or_b32 v7, v7, 9, 0x7c00
	v_cmp_ne_u32_e64 s1, v12, v25
	scratch_load_b32 v25, off, off offset:128 th:TH_LOAD_LU ; 4-byte Folded Reload
	v_mul_f64_e32 v[11:12], s[8:9], v[18:19]
	v_lshrrev_b32_e32 v18, 16, v2
	s_wait_alu 0xf1ff
	v_cndmask_b32_e64 v13, 0, 1, s1
	s_delay_alu instid0(VALU_DEP_1)
	v_or_b32_e32 v13, v24, v13
	scratch_load_b32 v24, off, off offset:116 th:TH_LOAD_LU ; 4-byte Folded Reload
	v_lshrrev_b32_e32 v20, 8, v17
	s_wait_alu 0xfffd
	v_cndmask_b32_e32 v19, v14, v13, vcc_lo
	v_and_or_b32 v13, 0x1ff, v17, v16
	v_cmp_gt_i32_e32 vcc_lo, 31, v23
	v_bfe_u32 v21, v17, 20, 11
	v_lshrrev_b32_e32 v17, 16, v17
	v_and_b32_e32 v16, 7, v19
	s_wait_alu 0xfffd
	v_cndmask_b32_e32 v3, 0x7c00, v3, vcc_lo
	v_cmp_ne_u32_e32 vcc_lo, 0, v13
	s_delay_alu instid0(VALU_DEP_3) | instskip(SKIP_3) | instid1(VALU_DEP_2)
	v_cmp_eq_u32_e64 s0, 3, v16
	s_wait_alu 0xfffd
	v_cndmask_b32_e64 v13, 0, 1, vcc_lo
	v_cmp_eq_u32_e32 vcc_lo, 0x40f, v23
	v_and_or_b32 v20, 0xffe, v20, v13
	s_wait_alu 0xfffd
	v_cndmask_b32_e32 v22, v3, v7, vcc_lo
	v_cmp_lt_i32_e32 vcc_lo, 5, v16
	v_lshrrev_b32_e32 v7, 2, v19
	v_sub_nc_u32_e32 v3, 0x3f1, v21
	v_or_b32_e32 v16, 0x1000, v20
	v_lshrrev_b32_e32 v19, 16, v8
	s_or_b32 vcc_lo, s0, vcc_lo
	v_and_or_b32 v8, 0x1ff, v12, v11
	s_wait_alu 0xfffe
	v_add_co_ci_u32_e32 v23, vcc_lo, 0, v7, vcc_lo
	v_med3_i32 v3, v3, 0, 13
	v_cmp_ne_u32_e32 vcc_lo, 0, v5
	v_lshrrev_b32_e32 v11, 8, v12
	v_and_or_b32 v1, 0x8000, v19, v22
	s_delay_alu instid0(VALU_DEP_4)
	v_lshrrev_b32_e32 v7, v3, v16
	s_wait_alu 0xfffd
	v_cndmask_b32_e64 v5, 0, 1, vcc_lo
	v_cmp_ne_u32_e32 vcc_lo, 0, v8
	v_and_b32_e32 v1, 0xffff, v1
	v_lshlrev_b32_e32 v3, v3, v7
	s_delay_alu instid0(VALU_DEP_4) | instskip(SKIP_2) | instid1(VALU_DEP_3)
	v_lshl_or_b32 v5, v5, 9, 0x7c00
	s_wait_alu 0xfffd
	v_cndmask_b32_e64 v8, 0, 1, vcc_lo
	v_cmp_ne_u32_e32 vcc_lo, v3, v16
	v_add_nc_u32_e32 v16, 0xfffffc10, v21
	s_delay_alu instid0(VALU_DEP_3) | instskip(SKIP_3) | instid1(VALU_DEP_2)
	v_and_or_b32 v11, 0xffe, v11, v8
	s_wait_alu 0xfffd
	v_cndmask_b32_e64 v3, 0, 1, vcc_lo
	v_cmp_gt_i32_e32 vcc_lo, 31, v15
	v_or_b32_e32 v3, v7, v3
	s_wait_alu 0xfffd
	v_cndmask_b32_e32 v23, 0x7c00, v23, vcc_lo
	v_cmp_gt_i32_e32 vcc_lo, 1, v16
	s_wait_loadcnt 0x1
	v_mul_f16_e32 v14, v25, v18
	s_wait_loadcnt 0x0
	s_delay_alu instid0(VALU_DEP_1) | instskip(SKIP_1) | instid1(VALU_DEP_2)
	v_fmac_f16_e32 v14, v24, v2
	v_mul_f16_e32 v2, v25, v2
	v_cvt_f32_f16_e32 v14, v14
	s_delay_alu instid0(VALU_DEP_2) | instskip(SKIP_2) | instid1(VALU_DEP_4)
	v_fma_f16 v2, v24, v18, -v2
	v_bfe_u32 v18, v12, 20, 11
	v_or_b32_e32 v24, 0x1000, v11
	v_cvt_f64_f32_e32 v[13:14], v14
	s_delay_alu instid0(VALU_DEP_4) | instskip(NEXT) | instid1(VALU_DEP_4)
	v_cvt_f32_f16_e32 v2, v2
	v_sub_nc_u32_e32 v21, 0x3f1, v18
	v_add_nc_u32_e32 v18, 0xfffffc10, v18
	s_delay_alu instid0(VALU_DEP_3) | instskip(NEXT) | instid1(VALU_DEP_3)
	v_cvt_f64_f32_e32 v[7:8], v2
	v_med3_i32 v21, v21, 0, 13
	v_lshl_or_b32 v2, v16, 12, v20
	s_delay_alu instid0(VALU_DEP_2) | instskip(SKIP_1) | instid1(VALU_DEP_2)
	v_lshrrev_b32_e32 v26, v21, v24
	s_wait_alu 0xfffd
	v_cndmask_b32_e32 v25, v2, v3, vcc_lo
	v_cmp_eq_u32_e32 vcc_lo, 0x40f, v15
	s_delay_alu instid0(VALU_DEP_3) | instskip(NEXT) | instid1(VALU_DEP_3)
	v_lshlrev_b32_e32 v21, v21, v26
	v_and_b32_e32 v15, 7, v25
	s_wait_alu 0xfffd
	v_cndmask_b32_e32 v5, v23, v5, vcc_lo
	scratch_load_b32 v23, off, off offset:108 th:TH_LOAD_LU ; 4-byte Folded Reload
	v_cmp_ne_u32_e64 s0, v21, v24
	scratch_load_b32 v24, off, off offset:124 th:TH_LOAD_LU ; 4-byte Folded Reload
	v_and_or_b32 v19, 0x8000, v6, v5
	v_lshrrev_b32_e32 v6, 2, v25
	v_cmp_lt_i32_e32 vcc_lo, 5, v15
	s_wait_alu 0xf1ff
	v_cndmask_b32_e64 v5, 0, 1, s0
	v_cmp_eq_u32_e64 s0, 3, v15
	v_lshl_or_b32 v15, v18, 12, v11
	v_lshl_or_b32 v19, v19, 16, v1
	s_delay_alu instid0(VALU_DEP_4)
	v_or_b32_e32 v5, v26, v5
	s_clause 0x1
	scratch_load_b32 v26, off, off offset:112 th:TH_LOAD_LU
	scratch_load_b32 v25, off, off offset:96 th:TH_LOAD_LU
	s_or_b32 vcc_lo, s0, vcc_lo
	s_wait_alu 0xfffe
	v_add_co_ci_u32_e32 v21, vcc_lo, 0, v6, vcc_lo
	v_cmp_ne_u32_e32 vcc_lo, 0, v20
	v_mul_f64_e32 v[13:14], s[8:9], v[13:14]
	s_wait_alu 0xfffd
	v_cndmask_b32_e64 v20, 0, 1, vcc_lo
	v_cmp_gt_i32_e32 vcc_lo, 1, v18
	s_wait_alu 0xfffd
	v_dual_cndmask_b32 v15, v15, v5 :: v_dual_add_nc_u32 v2, 0x200, v116
	ds_load_2addr_b32 v[2:3], v2 offset0:124 offset1:187
	v_mul_f64_e32 v[5:6], s[8:9], v[7:8]
	v_cmp_gt_i32_e32 vcc_lo, 31, v16
	v_lshl_or_b32 v8, v20, 9, 0x7c00
	v_and_b32_e32 v1, 7, v15
	s_wait_alu 0xfffd
	v_cndmask_b32_e32 v7, 0x7c00, v21, vcc_lo
	v_cmp_eq_u32_e32 vcc_lo, 0x40f, v16
	s_delay_alu instid0(VALU_DEP_3) | instskip(SKIP_1) | instid1(VALU_DEP_3)
	v_cmp_eq_u32_e64 s0, 3, v1
	s_wait_alu 0xfffd
	v_cndmask_b32_e32 v16, v7, v8, vcc_lo
	v_cmp_lt_i32_e32 vcc_lo, 5, v1
	v_lshrrev_b32_e32 v1, 2, v15
	s_delay_alu instid0(VALU_DEP_3)
	v_and_or_b32 v16, 0x8000, v17, v16
	s_or_b32 vcc_lo, s0, vcc_lo
	s_wait_dscnt 0x0
	v_lshrrev_b32_e32 v22, 16, v2
	s_wait_alu 0xfffe
	v_add_co_ci_u32_e32 v1, vcc_lo, 0, v1, vcc_lo
	v_cmp_ne_u32_e32 vcc_lo, 0, v11
	v_and_b32_e32 v16, 0xffff, v16
	v_and_or_b32 v7, 0x1ff, v14, v13
	v_lshrrev_b32_e32 v15, 8, v14
	s_wait_alu 0xfffd
	v_cndmask_b32_e64 v11, 0, 1, vcc_lo
	v_cmp_gt_i32_e32 vcc_lo, 31, v18
	v_cmp_ne_u32_e64 s1, 0, v7
	s_delay_alu instid0(VALU_DEP_3)
	v_lshl_or_b32 v11, v11, 9, 0x7c00
	s_wait_alu 0xfffd
	v_cndmask_b32_e32 v1, 0x7c00, v1, vcc_lo
	v_cmp_eq_u32_e32 vcc_lo, 0x40f, v18
	s_wait_alu 0xf1ff
	v_cndmask_b32_e64 v13, 0, 1, s1
	v_and_or_b32 v5, 0x1ff, v6, v5
	v_bfe_u32 v17, v6, 20, 11
	s_wait_alu 0xfffd
	v_cndmask_b32_e32 v1, v1, v11, vcc_lo
	v_and_or_b32 v13, 0xffe, v15, v13
	v_lshrrev_b32_e32 v11, 16, v12
	v_cmp_ne_u32_e32 vcc_lo, 0, v5
	s_delay_alu instid0(VALU_DEP_3) | instskip(NEXT) | instid1(VALU_DEP_3)
	v_or_b32_e32 v21, 0x1000, v13
	v_and_or_b32 v11, 0x8000, v11, v1
	s_wait_alu 0xfffd
	v_cndmask_b32_e64 v5, 0, 1, vcc_lo
	s_wait_loadcnt 0x2
	v_mul_f16_e32 v20, v24, v22
	s_delay_alu instid0(VALU_DEP_1) | instskip(SKIP_2) | instid1(VALU_DEP_3)
	v_fmac_f16_e32 v20, v23, v2
	v_mul_f16_e32 v2, v24, v2
	v_lshrrev_b32_e32 v24, 16, v4
	v_cvt_f32_f16_e32 v8, v20
	v_bfe_u32 v20, v14, 20, 11
	s_delay_alu instid0(VALU_DEP_4) | instskip(SKIP_1) | instid1(VALU_DEP_4)
	v_fma_f16 v2, v23, v22, -v2
	v_lshl_or_b32 v23, v11, 16, v16
	v_cvt_f64_f32_e32 v[7:8], v8
	s_delay_alu instid0(VALU_DEP_4) | instskip(NEXT) | instid1(VALU_DEP_4)
	v_sub_nc_u32_e32 v15, 0x3f1, v20
	v_cvt_f32_f16_e32 v2, v2
	v_add_nc_u32_e32 v20, 0xfffffc10, v20
	s_delay_alu instid0(VALU_DEP_3) | instskip(NEXT) | instid1(VALU_DEP_1)
	v_med3_i32 v15, v15, 0, 13
	v_lshrrev_b32_e32 v12, v15, v21
	s_delay_alu instid0(VALU_DEP_1) | instskip(SKIP_1) | instid1(VALU_DEP_2)
	v_lshlrev_b32_e32 v1, v15, v12
	v_lshrrev_b32_e32 v15, 8, v6
	v_cmp_ne_u32_e32 vcc_lo, v1, v21
	v_cvt_f64_f32_e32 v[1:2], v2
	s_delay_alu instid0(VALU_DEP_3)
	v_and_or_b32 v5, 0xffe, v15, v5
	v_sub_nc_u32_e32 v15, 0x3f1, v17
	s_wait_alu 0xfffd
	v_cndmask_b32_e64 v18, 0, 1, vcc_lo
	v_cmp_gt_i32_e32 vcc_lo, 1, v20
	v_or_b32_e32 v21, 0x1000, v5
	v_med3_i32 v15, v15, 0, 13
	s_delay_alu instid0(VALU_DEP_4) | instskip(SKIP_1) | instid1(VALU_DEP_3)
	v_or_b32_e32 v12, v12, v18
	v_lshl_or_b32 v18, v20, 12, v13
	v_lshrrev_b32_e32 v22, v15, v21
	s_wait_alu 0xfffd
	s_delay_alu instid0(VALU_DEP_2)
	v_cndmask_b32_e32 v18, v18, v12, vcc_lo
	v_mul_f64_e32 v[7:8], s[8:9], v[7:8]
	v_add_co_u32 v9, vcc_lo, v9, s4
	s_wait_alu 0xfffd
	v_add_co_ci_u32_e32 v10, vcc_lo, s5, v10, vcc_lo
	v_and_b32_e32 v16, 7, v18
	s_delay_alu instid0(VALU_DEP_3)
	v_add_co_u32 v11, vcc_lo, v9, s2
	v_lshlrev_b32_e32 v15, v15, v22
	s_wait_alu 0xfffd
	v_add_co_ci_u32_e32 v12, vcc_lo, s3, v10, vcc_lo
	v_cmp_lt_i32_e32 vcc_lo, 5, v16
	v_cmp_eq_u32_e64 s0, 3, v16
	v_lshrrev_b32_e32 v16, 2, v18
	v_cmp_ne_u32_e64 s1, v15, v21
	v_add_nc_u32_e32 v21, 0xfffffc10, v17
	s_wait_loadcnt 0x1
	v_mul_f16_e32 v18, v26, v24
	s_or_b32 vcc_lo, s0, vcc_lo
	s_wait_alu 0xfffe
	v_add_co_ci_u32_e32 v17, vcc_lo, 0, v16, vcc_lo
	v_cndmask_b32_e64 v15, 0, 1, s1
	v_cmp_ne_u32_e32 vcc_lo, 0, v13
	v_lshl_or_b32 v16, v21, 12, v5
	s_wait_loadcnt 0x0
	v_fmac_f16_e32 v18, v25, v4
	v_mul_f16_e32 v4, v26, v4
	v_or_b32_e32 v15, v22, v15
	s_wait_alu 0xfffd
	v_cndmask_b32_e64 v13, 0, 1, vcc_lo
	v_cmp_gt_i32_e32 vcc_lo, 1, v21
	v_fma_f16 v4, v25, v24, -v4
	v_lshrrev_b32_e32 v25, 16, v6
	s_wait_alu 0xfffd
	v_cndmask_b32_e32 v22, v16, v15, vcc_lo
	v_mul_f64_e32 v[15:16], s[8:9], v[1:2]
	v_cmp_gt_i32_e32 vcc_lo, 31, v20
	v_lshl_or_b32 v2, v13, 9, 0x7c00
	v_and_or_b32 v7, 0x1ff, v8, v7
	v_and_b32_e32 v13, 7, v22
	s_wait_alu 0xfffd
	v_cndmask_b32_e32 v1, 0x7c00, v17, vcc_lo
	v_cmp_eq_u32_e32 vcc_lo, 0x40f, v20
	v_bfe_u32 v20, v8, 20, 11
	v_cmp_ne_u32_e64 s0, 0, v7
	v_lshrrev_b32_e32 v7, 8, v8
	v_cvt_f32_f16_e32 v17, v18
	s_wait_alu 0xfffd
	v_cndmask_b32_e32 v1, v1, v2, vcc_lo
	v_cmp_lt_i32_e32 vcc_lo, 5, v13
	s_wait_alu 0xf1ff
	v_cndmask_b32_e64 v2, 0, 1, s0
	v_cmp_eq_u32_e64 s0, 3, v13
	v_lshrrev_b32_e32 v13, 16, v14
	v_lshrrev_b32_e32 v14, 2, v22
	v_cvt_f64_f32_e32 v[17:18], v17
	v_and_or_b32 v22, 0xffe, v7, v2
	s_or_b32 vcc_lo, s0, vcc_lo
	v_sub_nc_u32_e32 v7, 0x3f1, v20
	s_wait_alu 0xfffe
	v_add_co_ci_u32_e32 v2, vcc_lo, 0, v14, vcc_lo
	v_cmp_ne_u32_e32 vcc_lo, 0, v5
	v_or_b32_e32 v14, 0x1000, v22
	v_med3_i32 v7, v7, 0, 13
	v_and_or_b32 v13, 0x8000, v13, v1
	v_cvt_f32_f16_e32 v1, v4
	s_wait_alu 0xfffd
	v_cndmask_b32_e64 v5, 0, 1, vcc_lo
	v_cmp_gt_i32_e32 vcc_lo, 31, v21
	v_lshrrev_b32_e32 v24, v7, v14
	v_and_b32_e32 v13, 0xffff, v13
	v_lshrrev_b32_e32 v8, 16, v8
	v_lshl_or_b32 v5, v5, 9, 0x7c00
	s_wait_alu 0xfffd
	v_cndmask_b32_e32 v2, 0x7c00, v2, vcc_lo
	v_cmp_eq_u32_e32 vcc_lo, 0x40f, v21
	v_and_or_b32 v6, 0x1ff, v16, v15
	v_add_nc_u32_e32 v15, 0xfffffc10, v20
	v_lshrrev_b32_e32 v26, 8, v16
	s_wait_alu 0xfffd
	v_dual_cndmask_b32 v21, v2, v5 :: v_dual_lshlrev_b32 v2, v7, v24
	v_add_nc_u32_e32 v7, 0x1400, v116
	v_cvt_f64_f32_e32 v[4:5], v1
	v_bfe_u32 v27, v16, 20, 11
	v_lshrrev_b32_e32 v16, 16, v16
	v_cmp_ne_u32_e32 vcc_lo, v2, v14
	ds_load_2addr_b32 v[1:2], v7 offset0:106 offset1:169
	global_store_b32 v[9:10], v19, off
	global_store_b32 v[11:12], v23, off
	scratch_load_b32 v28, off, off offset:104 th:TH_LOAD_LU ; 4-byte Folded Reload
	s_wait_alu 0xfffd
	v_cndmask_b32_e64 v14, 0, 1, vcc_lo
	v_cmp_ne_u32_e32 vcc_lo, 0, v6
	v_mul_f64_e32 v[6:7], s[8:9], v[17:18]
	v_and_or_b32 v17, 0x8000, v25, v21
	s_wait_alu 0xfffd
	v_cndmask_b32_e64 v20, 0, 1, vcc_lo
	v_or_b32_e32 v14, v24, v14
	v_lshl_or_b32 v18, v15, 12, v22
	v_sub_nc_u32_e32 v21, 0x3f1, v27
	v_cmp_gt_i32_e32 vcc_lo, 1, v15
	v_and_or_b32 v20, 0xffe, v26, v20
	scratch_load_b32 v26, off, off offset:92 th:TH_LOAD_LU ; 4-byte Folded Reload
	v_lshl_or_b32 v17, v17, 16, v13
	v_med3_i32 v21, v21, 0, 13
	s_wait_alu 0xfffd
	v_cndmask_b32_e32 v14, v18, v14, vcc_lo
	v_or_b32_e32 v18, 0x1000, v20
	v_add_co_u32 v9, vcc_lo, v11, s2
	s_wait_alu 0xfffd
	v_add_co_ci_u32_e32 v10, vcc_lo, s3, v12, vcc_lo
	s_delay_alu instid0(VALU_DEP_3)
	v_lshrrev_b32_e32 v19, v21, v18
	v_and_b32_e32 v13, 7, v14
	s_wait_dscnt 0x0
	v_lshrrev_b32_e32 v23, 16, v1
	global_store_b32 v[9:10], v17, off
	v_lshrrev_b32_e32 v17, 16, v3
	v_lshlrev_b32_e32 v12, v21, v19
	v_cmp_lt_i32_e32 vcc_lo, 5, v13
	v_cmp_eq_u32_e64 s0, 3, v13
	v_lshrrev_b32_e32 v13, 2, v14
	v_mul_f64_e32 v[4:5], s[8:9], v[4:5]
	v_cmp_ne_u32_e64 s1, v12, v18
	v_add_nc_u32_e32 v18, 0xfffffc10, v27
	s_or_b32 vcc_lo, s0, vcc_lo
	s_wait_alu 0xfffe
	v_add_co_ci_u32_e32 v13, vcc_lo, 0, v13, vcc_lo
	v_cndmask_b32_e64 v12, 0, 1, s1
	v_cmp_gt_i32_e32 vcc_lo, 31, v15
	s_delay_alu instid0(VALU_DEP_2)
	v_or_b32_e32 v14, v19, v12
	v_lshl_or_b32 v19, v18, 12, v20
	v_and_or_b32 v6, 0x1ff, v7, v6
	s_wait_alu 0xfffd
	v_cndmask_b32_e32 v13, 0x7c00, v13, vcc_lo
	v_cmp_gt_i32_e32 vcc_lo, 1, v18
	v_bfe_u32 v21, v7, 20, 11
	s_wait_alu 0xfffd
	v_cndmask_b32_e32 v14, v19, v14, vcc_lo
	v_cmp_ne_u32_e32 vcc_lo, 0, v6
	v_lshrrev_b32_e32 v19, 8, v7
	v_lshrrev_b32_e32 v7, 16, v7
	s_delay_alu instid0(VALU_DEP_4)
	v_and_b32_e32 v24, 7, v14
	s_wait_alu 0xfffd
	v_cndmask_b32_e64 v6, 0, 1, vcc_lo
	v_cmp_ne_u32_e32 vcc_lo, 0, v22
	v_lshrrev_b32_e32 v14, 2, v14
	v_cmp_eq_u32_e64 s0, 3, v24
	s_delay_alu instid0(VALU_DEP_4)
	v_and_or_b32 v6, 0xffe, v19, v6
	s_wait_alu 0xfffd
	v_cndmask_b32_e64 v22, 0, 1, vcc_lo
	v_cmp_lt_i32_e32 vcc_lo, 5, v24
	v_sub_nc_u32_e32 v19, 0x3f1, v21
	v_or_b32_e32 v24, 0x1000, v6
	s_delay_alu instid0(VALU_DEP_4) | instskip(SKIP_1) | instid1(VALU_DEP_3)
	v_lshl_or_b32 v22, v22, 9, 0x7c00
	s_or_b32 vcc_lo, s0, vcc_lo
	v_med3_i32 v19, v19, 0, 13
	s_wait_alu 0xfffe
	v_add_co_ci_u32_e32 v14, vcc_lo, 0, v14, vcc_lo
	v_cmp_eq_u32_e32 vcc_lo, 0x40f, v15
	v_and_or_b32 v4, 0x1ff, v5, v4
	v_lshrrev_b32_e32 v25, v19, v24
	s_wait_alu 0xfffd
	v_cndmask_b32_e32 v15, v13, v22, vcc_lo
	v_cmp_gt_i32_e32 vcc_lo, 31, v18
	s_delay_alu instid0(VALU_DEP_3) | instskip(NEXT) | instid1(VALU_DEP_3)
	v_lshlrev_b32_e32 v13, v19, v25
	v_and_or_b32 v8, 0x8000, v8, v15
	s_wait_alu 0xfffd
	v_cndmask_b32_e32 v22, 0x7c00, v14, vcc_lo
	v_cmp_ne_u32_e32 vcc_lo, 0, v20
	v_lshrrev_b32_e32 v14, 8, v5
	v_and_b32_e32 v8, 0xffff, v8
	s_wait_alu 0xfffd
	v_cndmask_b32_e64 v19, 0, 1, vcc_lo
	v_cmp_ne_u32_e32 vcc_lo, v13, v24
	s_wait_alu 0xfffd
	v_cndmask_b32_e64 v13, 0, 1, vcc_lo
	v_cmp_ne_u32_e32 vcc_lo, 0, v4
	s_wait_alu 0xfffd
	v_cndmask_b32_e64 v4, 0, 1, vcc_lo
	s_delay_alu instid0(VALU_DEP_1) | instskip(SKIP_3) | instid1(VALU_DEP_1)
	v_and_or_b32 v4, 0xffe, v14, v4
	s_wait_loadcnt 0x1
	v_mul_f16_e32 v11, v28, v23
	s_wait_loadcnt 0x0
	v_fmac_f16_e32 v11, v26, v1
	v_mul_f16_e32 v1, v28, v1
	s_clause 0x1
	scratch_load_b32 v28, off, off offset:88 th:TH_LOAD_LU
	scratch_load_b32 v27, off, off offset:72 th:TH_LOAD_LU
	v_cvt_f32_f16_e32 v11, v11
	v_fma_f16 v1, v26, v23, -v1
	v_or_b32_e32 v23, v25, v13
	v_add_nc_u32_e32 v20, 0xfffffc10, v21
	v_bfe_u32 v21, v5, 20, 11
	scratch_load_b32 v26, off, off offset:100 th:TH_LOAD_LU ; 4-byte Folded Reload
	v_cvt_f32_f16_e32 v1, v1
	v_cvt_f64_f32_e32 v[11:12], v11
	v_lshl_or_b32 v24, v20, 12, v6
	v_sub_nc_u32_e32 v25, 0x3f1, v21
	v_cmp_gt_i32_e32 vcc_lo, 1, v20
	v_cvt_f64_f32_e32 v[13:14], v1
	v_lshl_or_b32 v1, v19, 9, 0x7c00
	v_lshrrev_b32_e32 v5, 16, v5
	s_wait_alu 0xfffd
	v_cndmask_b32_e32 v19, v24, v23, vcc_lo
	v_med3_i32 v24, v25, 0, 13
	scratch_load_b32 v25, off, off offset:84 th:TH_LOAD_LU ; 4-byte Folded Reload
	v_or_b32_e32 v23, 0x1000, v4
	v_cmp_eq_u32_e32 vcc_lo, 0x40f, v18
	v_and_b32_e32 v18, 7, v19
	s_delay_alu instid0(VALU_DEP_3) | instskip(SKIP_2) | instid1(VALU_DEP_3)
	v_lshrrev_b32_e32 v15, v24, v23
	s_wait_alu 0xfffd
	v_cndmask_b32_e32 v1, v22, v1, vcc_lo
	v_cmp_lt_i32_e32 vcc_lo, 5, v18
	v_cmp_eq_u32_e64 s0, 3, v18
	v_lshrrev_b32_e32 v18, 2, v19
	v_add_nc_u32_e32 v19, 0xfffffc10, v21
	v_and_or_b32 v1, 0x8000, v16, v1
	v_lshlrev_b32_e32 v16, v24, v15
	s_or_b32 vcc_lo, s0, vcc_lo
	s_wait_alu 0xfffe
	v_add_co_ci_u32_e32 v18, vcc_lo, 0, v18, vcc_lo
	s_delay_alu instid0(VALU_DEP_2) | instskip(SKIP_3) | instid1(VALU_DEP_3)
	v_cmp_ne_u32_e64 s1, v16, v23
	v_cmp_ne_u32_e32 vcc_lo, 0, v6
	v_lshl_or_b32 v1, v1, 16, v8
	s_wait_alu 0xf1ff
	v_cndmask_b32_e64 v16, 0, 1, s1
	s_wait_alu 0xfffd
	v_cndmask_b32_e64 v6, 0, 1, vcc_lo
	v_cmp_gt_i32_e32 vcc_lo, 1, v19
	v_mul_f64_e32 v[11:12], s[8:9], v[11:12]
	v_or_b32_e32 v15, v15, v16
	v_lshl_or_b32 v16, v19, 12, v4
	v_lshl_or_b32 v6, v6, 9, 0x7c00
	v_mul_f64_e32 v[13:14], s[8:9], v[13:14]
	s_wait_alu 0xfffd
	s_delay_alu instid0(VALU_DEP_3) | instskip(NEXT) | instid1(VALU_DEP_1)
	v_cndmask_b32_e32 v22, v16, v15, vcc_lo
	v_and_b32_e32 v24, 7, v22
	v_lshrrev_b32_e32 v8, 2, v22
	s_delay_alu instid0(VALU_DEP_2) | instskip(SKIP_3) | instid1(VALU_DEP_3)
	v_cmp_eq_u32_e64 s0, 3, v24
	v_and_or_b32 v11, 0x1ff, v12, v11
	v_bfe_u32 v23, v12, 20, 11
	v_and_or_b32 v13, 0x1ff, v14, v13
	v_cmp_ne_u32_e32 vcc_lo, 0, v11
	s_wait_alu 0xfffd
	v_cndmask_b32_e64 v11, 0, 1, vcc_lo
	v_cmp_gt_i32_e32 vcc_lo, 31, v20
	s_wait_alu 0xfffd
	v_cndmask_b32_e32 v18, 0x7c00, v18, vcc_lo
	v_cmp_eq_u32_e32 vcc_lo, 0x40f, v20
	s_wait_alu 0xfffd
	s_delay_alu instid0(VALU_DEP_2)
	v_cndmask_b32_e32 v6, v18, v6, vcc_lo
	v_cmp_lt_i32_e32 vcc_lo, 5, v24
	s_or_b32 vcc_lo, s0, vcc_lo
	s_wait_loadcnt 0x1
	v_mul_f16_e32 v21, v26, v17
	s_wait_loadcnt 0x0
	s_delay_alu instid0(VALU_DEP_1) | instskip(SKIP_1) | instid1(VALU_DEP_2)
	v_fmac_f16_e32 v21, v25, v3
	v_mul_f16_e32 v3, v26, v3
	v_cvt_f32_f16_e32 v15, v21
	v_lshrrev_b32_e32 v21, 8, v12
	s_delay_alu instid0(VALU_DEP_3)
	v_fma_f16 v3, v25, v17, -v3
	v_add_nc_u32_e32 v17, 0xfffffc10, v23
	v_lshrrev_b32_e32 v12, 16, v12
	v_cvt_f64_f32_e32 v[15:16], v15
	v_and_or_b32 v11, 0xffe, v21, v11
	v_sub_nc_u32_e32 v21, 0x3f1, v23
	v_cvt_f32_f16_e32 v3, v3
	s_delay_alu instid0(VALU_DEP_3) | instskip(NEXT) | instid1(VALU_DEP_3)
	v_or_b32_e32 v18, 0x1000, v11
	v_med3_i32 v20, v21, 0, 13
	v_and_or_b32 v21, 0x8000, v7, v6
	s_wait_alu 0xfffe
	v_add_co_ci_u32_e32 v7, vcc_lo, 0, v8, vcc_lo
	v_cmp_ne_u32_e32 vcc_lo, 0, v4
	v_lshrrev_b32_e32 v6, v20, v18
	v_and_b32_e32 v21, 0xffff, v21
	s_wait_alu 0xfffd
	v_cndmask_b32_e64 v4, 0, 1, vcc_lo
	s_delay_alu instid0(VALU_DEP_3) | instskip(SKIP_1) | instid1(VALU_DEP_3)
	v_lshlrev_b32_e32 v8, v20, v6
	v_cmp_gt_i32_e32 vcc_lo, 31, v19
	v_lshl_or_b32 v4, v4, 9, 0x7c00
	s_wait_alu 0xfffd
	v_cndmask_b32_e32 v7, 0x7c00, v7, vcc_lo
	v_cmp_ne_u32_e32 vcc_lo, v8, v18
	v_lshl_or_b32 v18, v17, 12, v11
	s_wait_alu 0xfffd
	v_cndmask_b32_e64 v8, 0, 1, vcc_lo
	v_cmp_eq_u32_e32 vcc_lo, 0x40f, v19
	v_bfe_u32 v19, v14, 20, 11
	s_delay_alu instid0(VALU_DEP_3)
	v_or_b32_e32 v8, v6, v8
	s_wait_alu 0xfffd
	v_cndmask_b32_e32 v4, v7, v4, vcc_lo
	v_cmp_ne_u32_e32 vcc_lo, 0, v13
	v_lshrrev_b32_e32 v13, 8, v14
	v_mul_f64_e32 v[6:7], s[8:9], v[15:16]
	v_cvt_f64_f32_e32 v[15:16], v3
	v_and_or_b32 v5, 0x8000, v5, v4
	s_wait_alu 0xfffd
	v_cndmask_b32_e64 v3, 0, 1, vcc_lo
	v_cmp_gt_i32_e32 vcc_lo, 1, v17
	s_delay_alu instid0(VALU_DEP_3) | instskip(NEXT) | instid1(VALU_DEP_3)
	v_lshl_or_b32 v21, v5, 16, v21
	v_and_or_b32 v13, 0xffe, v13, v3
	s_wait_alu 0xfffd
	v_cndmask_b32_e32 v18, v18, v8, vcc_lo
	v_sub_nc_u32_e32 v3, 0x3f1, v19
	v_add_nc_u32_e32 v8, 0xc00, v116
	v_or_b32_e32 v22, 0x1000, v13
	s_delay_alu instid0(VALU_DEP_4) | instskip(NEXT) | instid1(VALU_DEP_4)
	v_and_b32_e32 v20, 7, v18
	v_med3_i32 v23, v3, 0, 13
	ds_load_2addr_b32 v[3:4], v8 offset0:114 offset1:177
	v_add_co_u32 v8, s1, v9, s4
	v_cmp_lt_i32_e32 vcc_lo, 5, v20
	v_cmp_eq_u32_e64 s0, 3, v20
	v_lshrrev_b32_e32 v20, v23, v22
	s_wait_alu 0xf1ff
	v_add_co_ci_u32_e64 v9, s1, s5, v10, s1
	v_lshrrev_b32_e32 v10, 2, v18
	s_or_b32 vcc_lo, s0, vcc_lo
	v_lshlrev_b32_e32 v18, v23, v20
	s_wait_alu 0xfffe
	s_delay_alu instid0(VALU_DEP_2) | instskip(NEXT) | instid1(VALU_DEP_2)
	v_add_co_ci_u32_e32 v5, vcc_lo, 0, v10, vcc_lo
	v_cmp_ne_u32_e32 vcc_lo, v18, v22
	v_add_nc_u32_e32 v18, 0xfffffc10, v19
	s_wait_alu 0xfffd
	v_cndmask_b32_e64 v10, 0, 1, vcc_lo
	v_cmp_gt_i32_e32 vcc_lo, 31, v17
	s_wait_dscnt 0x0
	v_lshrrev_b32_e32 v22, 16, v3
	v_and_or_b32 v23, 0x1ff, v7, v6
	v_or_b32_e32 v10, v20, v10
	s_wait_alu 0xfffd
	v_cndmask_b32_e32 v19, 0x7c00, v5, vcc_lo
	v_cmp_ne_u32_e32 vcc_lo, 0, v11
	v_mul_f64_e32 v[5:6], s[8:9], v[15:16]
	v_lshl_or_b32 v20, v18, 12, v13
	v_mul_f16_e32 v15, v28, v22
	s_wait_alu 0xfffd
	v_cndmask_b32_e64 v11, 0, 1, vcc_lo
	v_cmp_gt_i32_e32 vcc_lo, 1, v18
	s_delay_alu instid0(VALU_DEP_3) | instskip(SKIP_1) | instid1(VALU_DEP_4)
	v_fmac_f16_e32 v15, v27, v3
	v_mul_f16_e32 v3, v28, v3
	v_lshl_or_b32 v24, v11, 9, 0x7c00
	s_wait_alu 0xfffd
	v_cndmask_b32_e32 v16, v20, v10, vcc_lo
	v_cmp_ne_u32_e32 vcc_lo, 0, v23
	v_lshrrev_b32_e32 v20, 8, v7
	v_cvt_f32_f16_e32 v15, v15
	v_bfe_u32 v23, v7, 20, 11
	v_and_b32_e32 v25, 7, v16
	s_wait_alu 0xfffd
	v_cndmask_b32_e64 v10, 0, 1, vcc_lo
	v_cmp_eq_u32_e32 vcc_lo, 0x40f, v17
	v_fma_f16 v3, v27, v22, -v3
	v_sub_nc_u32_e32 v26, 0x3f1, v23
	v_cmp_eq_u32_e64 s0, 3, v25
	v_and_or_b32 v20, 0xffe, v20, v10
	v_cvt_f64_f32_e32 v[10:11], v15
	s_wait_alu 0xfffd
	v_cndmask_b32_e32 v15, v19, v24, vcc_lo
	v_cmp_lt_i32_e32 vcc_lo, 5, v25
	v_med3_i32 v19, v26, 0, 13
	v_or_b32_e32 v17, 0x1000, v20
	v_cvt_f32_f16_e32 v3, v3
	v_and_or_b32 v24, 0x8000, v12, v15
	v_lshrrev_b32_e32 v12, 2, v16
	s_or_b32 vcc_lo, s0, vcc_lo
	v_lshrrev_b32_e32 v15, v19, v17
	s_delay_alu instid0(VALU_DEP_3)
	v_and_b32_e32 v24, 0xffff, v24
	s_wait_alu 0xfffe
	v_add_co_ci_u32_e32 v12, vcc_lo, 0, v12, vcc_lo
	v_cmp_ne_u32_e32 vcc_lo, 0, v13
	v_lshlrev_b32_e32 v16, v19, v15
	v_and_or_b32 v5, 0x1ff, v6, v5
	v_lshrrev_b32_e32 v26, 16, v6
	s_wait_alu 0xfffd
	v_cndmask_b32_e64 v13, 0, 1, vcc_lo
	v_cmp_gt_i32_e32 vcc_lo, 31, v18
	s_delay_alu instid0(VALU_DEP_2)
	v_lshl_or_b32 v22, v13, 9, 0x7c00
	s_wait_alu 0xfffd
	v_cndmask_b32_e32 v19, 0x7c00, v12, vcc_lo
	v_cmp_ne_u32_e32 vcc_lo, v16, v17
	v_cvt_f64_f32_e32 v[12:13], v3
	v_add_nc_u32_e32 v16, 0xfffffc10, v23
	v_lshrrev_b32_e32 v17, 8, v6
	v_bfe_u32 v23, v6, 20, 11
	s_wait_alu 0xfffd
	v_cndmask_b32_e64 v3, 0, 1, vcc_lo
	v_cmp_ne_u32_e32 vcc_lo, 0, v5
	s_delay_alu instid0(VALU_DEP_2)
	v_or_b32_e32 v3, v15, v3
	s_wait_alu 0xfffd
	v_cndmask_b32_e64 v5, 0, 1, vcc_lo
	v_cmp_eq_u32_e32 vcc_lo, 0x40f, v18
	v_lshl_or_b32 v15, v16, 12, v20
	v_mul_f64_e32 v[10:11], s[8:9], v[10:11]
	s_delay_alu instid0(VALU_DEP_4)
	v_and_or_b32 v5, 0xffe, v17, v5
	s_wait_alu 0xfffd
	v_cndmask_b32_e32 v18, v19, v22, vcc_lo
	v_cmp_gt_i32_e32 vcc_lo, 1, v16
	v_sub_nc_u32_e32 v17, 0x3f1, v23
	v_lshrrev_b32_e32 v19, 16, v14
	v_or_b32_e32 v22, 0x1000, v5
	s_wait_alu 0xfffd
	v_cndmask_b32_e32 v3, v15, v3, vcc_lo
	v_add_co_u32 v14, vcc_lo, v8, s2
	v_med3_i32 v17, v17, 0, 13
	s_wait_alu 0xfffd
	v_add_co_ci_u32_e32 v15, vcc_lo, s3, v9, vcc_lo
	v_and_or_b32 v18, 0x8000, v19, v18
	global_store_b32 v[8:9], v1, off
	global_store_b32 v[14:15], v21, off
	v_lshrrev_b32_e32 v19, v17, v22
	v_and_b32_e32 v25, 7, v3
	v_lshl_or_b32 v21, v18, 16, v24
	scratch_load_b32 v24, off, off offset:80 th:TH_LOAD_LU ; 4-byte Folded Reload
	v_lshrrev_b32_e32 v3, 2, v3
	v_lshlrev_b32_e32 v1, v17, v19
	v_add_nc_u32_e32 v17, 0xfffffc10, v23
	scratch_load_b32 v23, off, off offset:68 th:TH_LOAD_LU ; 4-byte Folded Reload
	v_cmp_lt_i32_e32 vcc_lo, 5, v25
	v_cmp_eq_u32_e64 s0, 3, v25
	v_cmp_ne_u32_e64 s1, v1, v22
	v_mul_f64_e32 v[8:9], s[8:9], v[12:13]
	v_lshl_or_b32 v13, v17, 12, v5
	v_lshrrev_b32_e32 v18, 16, v2
	s_or_b32 vcc_lo, s0, vcc_lo
	v_cndmask_b32_e64 v1, 0, 1, s1
	s_wait_alu 0xfffe
	v_add_co_ci_u32_e32 v3, vcc_lo, 0, v3, vcc_lo
	v_cmp_ne_u32_e32 vcc_lo, 0, v20
	v_lshrrev_b32_e32 v20, 16, v7
	v_or_b32_e32 v1, v19, v1
	v_and_or_b32 v10, 0x1ff, v11, v10
	v_bfe_u32 v19, v11, 20, 11
	s_wait_alu 0xfffd
	v_cndmask_b32_e64 v12, 0, 1, vcc_lo
	v_cmp_gt_i32_e32 vcc_lo, 31, v16
	s_delay_alu instid0(VALU_DEP_2)
	v_lshl_or_b32 v12, v12, 9, 0x7c00
	s_wait_alu 0xfffd
	v_cndmask_b32_e32 v3, 0x7c00, v3, vcc_lo
	v_cmp_gt_i32_e32 vcc_lo, 1, v17
	s_wait_alu 0xfffd
	v_cndmask_b32_e32 v1, v13, v1, vcc_lo
	v_cmp_eq_u32_e32 vcc_lo, 0x40f, v16
	v_lshrrev_b32_e32 v16, 8, v11
	s_wait_alu 0xfffd
	s_delay_alu instid0(VALU_DEP_3) | instskip(SKIP_2) | instid1(VALU_DEP_3)
	v_dual_cndmask_b32 v3, v3, v12 :: v_dual_and_b32 v12, 7, v1
	v_cmp_ne_u32_e32 vcc_lo, 0, v10
	v_lshrrev_b32_e32 v1, 2, v1
	v_and_or_b32 v3, 0x8000, v20, v3
	s_delay_alu instid0(VALU_DEP_4)
	v_cmp_eq_u32_e64 s0, 3, v12
	s_wait_alu 0xfffd
	v_cndmask_b32_e64 v10, 0, 1, vcc_lo
	v_cmp_lt_i32_e32 vcc_lo, 5, v12
	v_and_or_b32 v8, 0x1ff, v9, v8
	v_and_b32_e32 v3, 0xffff, v3
	s_delay_alu instid0(VALU_DEP_4)
	v_and_or_b32 v10, 0xffe, v16, v10
	s_or_b32 vcc_lo, s0, vcc_lo
	v_sub_nc_u32_e32 v16, 0x3f1, v19
	s_wait_alu 0xfffe
	v_add_co_ci_u32_e32 v1, vcc_lo, 0, v1, vcc_lo
	v_cmp_ne_u32_e32 vcc_lo, 0, v5
	s_delay_alu instid0(VALU_DEP_3) | instskip(SKIP_3) | instid1(VALU_DEP_2)
	v_med3_i32 v16, v16, 0, 13
	s_wait_alu 0xfffd
	v_cndmask_b32_e64 v5, 0, 1, vcc_lo
	v_cmp_gt_i32_e32 vcc_lo, 31, v17
	v_lshl_or_b32 v5, v5, 9, 0x7c00
	s_wait_alu 0xfffd
	v_cndmask_b32_e32 v1, 0x7c00, v1, vcc_lo
	v_cmp_ne_u32_e32 vcc_lo, 0, v8
	s_wait_alu 0xfffd
	v_cndmask_b32_e64 v8, 0, 1, vcc_lo
	s_wait_loadcnt 0x1
	v_mul_f16_e32 v13, v24, v18
	s_wait_loadcnt 0x0
	s_delay_alu instid0(VALU_DEP_1) | instskip(SKIP_1) | instid1(VALU_DEP_2)
	v_fmac_f16_e32 v13, v23, v2
	v_mul_f16_e32 v2, v24, v2
	v_cvt_f32_f16_e32 v7, v13
	s_delay_alu instid0(VALU_DEP_2)
	v_fma_f16 v2, v23, v18, -v2
	v_lshrrev_b32_e32 v18, 8, v9
	v_bfe_u32 v23, v9, 20, 11
	v_lshrrev_b32_e32 v9, 16, v9
	v_cvt_f64_f32_e32 v[12:13], v7
	v_or_b32_e32 v7, 0x1000, v10
	v_and_or_b32 v18, 0xffe, v18, v8
	v_cvt_f32_f16_e32 v2, v2
	s_delay_alu instid0(VALU_DEP_3) | instskip(NEXT) | instid1(VALU_DEP_3)
	v_lshrrev_b32_e32 v22, v16, v7
	v_or_b32_e32 v24, 0x1000, v18
	s_delay_alu instid0(VALU_DEP_2) | instskip(NEXT) | instid1(VALU_DEP_1)
	v_lshlrev_b32_e32 v16, v16, v22
	v_cmp_ne_u32_e32 vcc_lo, v16, v7
	v_add_nc_u32_e32 v16, 0xfffffc10, v19
	v_sub_nc_u32_e32 v19, 0x3f1, v23
	s_wait_alu 0xfffd
	v_cndmask_b32_e64 v7, 0, 1, vcc_lo
	v_cmp_eq_u32_e32 vcc_lo, 0x40f, v17
	s_delay_alu instid0(VALU_DEP_3) | instskip(NEXT) | instid1(VALU_DEP_3)
	v_med3_i32 v19, v19, 0, 13
	v_or_b32_e32 v22, v22, v7
	v_cvt_f64_f32_e32 v[7:8], v2
	s_delay_alu instid0(VALU_DEP_3)
	v_lshrrev_b32_e32 v25, v19, v24
	v_lshl_or_b32 v2, v16, 12, v10
	s_wait_alu 0xfffd
	v_cndmask_b32_e32 v17, v1, v5, vcc_lo
	v_cmp_gt_i32_e32 vcc_lo, 1, v16
	v_add_nc_u32_e32 v1, 0x400, v116
	s_wait_alu 0xfffd
	v_dual_cndmask_b32 v22, v2, v22 :: v_dual_lshlrev_b32 v19, v19, v25
	ds_load_2addr_b32 v[1:2], v1 offset0:122 offset1:185
	v_cmp_ne_u32_e64 s0, v19, v24
	v_mul_f64_e32 v[5:6], s[8:9], v[12:13]
	v_add_co_u32 v12, vcc_lo, v14, s2
	s_wait_alu 0xfffd
	v_add_co_ci_u32_e32 v13, vcc_lo, s3, v15, vcc_lo
	s_wait_alu 0xf1ff
	v_cndmask_b32_e64 v15, 0, 1, s0
	scratch_load_b32 v24, off, off offset:60 th:TH_LOAD_LU ; 4-byte Folded Reload
	v_and_b32_e32 v27, 7, v22
	v_lshrrev_b32_e32 v19, 2, v22
	v_and_or_b32 v14, 0x8000, v26, v17
	v_or_b32_e32 v15, v25, v15
	scratch_load_b32 v25, off, off offset:76 th:TH_LOAD_LU ; 4-byte Folded Reload
	v_cmp_lt_i32_e32 vcc_lo, 5, v27
	v_cmp_eq_u32_e64 s0, 3, v27
	v_add_nc_u32_e32 v17, 0xfffffc10, v23
	v_lshl_or_b32 v3, v14, 16, v3
	global_store_b32 v[12:13], v21, off
	s_or_b32 vcc_lo, s0, vcc_lo
	v_lshl_or_b32 v20, v17, 12, v18
	s_wait_alu 0xfffe
	v_add_co_ci_u32_e32 v19, vcc_lo, 0, v19, vcc_lo
	v_cmp_ne_u32_e32 vcc_lo, 0, v10
	v_mul_f64_e32 v[7:8], s[8:9], v[7:8]
	s_wait_alu 0xfffd
	v_cndmask_b32_e64 v10, 0, 1, vcc_lo
	v_cmp_gt_i32_e32 vcc_lo, 1, v17
	s_delay_alu instid0(VALU_DEP_2)
	v_lshl_or_b32 v10, v10, 9, 0x7c00
	s_wait_alu 0xfffd
	v_cndmask_b32_e32 v15, v20, v15, vcc_lo
	s_wait_dscnt 0x0
	v_lshrrev_b32_e32 v20, 16, v1
	v_cmp_gt_i32_e32 vcc_lo, 31, v16
	s_delay_alu instid0(VALU_DEP_3)
	v_and_b32_e32 v14, 7, v15
	v_and_or_b32 v5, 0x1ff, v6, v5
	s_wait_alu 0xfffd
	v_cndmask_b32_e32 v19, 0x7c00, v19, vcc_lo
	v_cmp_eq_u32_e32 vcc_lo, 0x40f, v16
	v_cmp_eq_u32_e64 s0, 3, v14
	v_cmp_ne_u32_e64 s1, 0, v5
	s_wait_alu 0xfffd
	v_cndmask_b32_e32 v16, v19, v10, vcc_lo
	v_cmp_lt_i32_e32 vcc_lo, 5, v14
	v_lshrrev_b32_e32 v19, 16, v11
	v_lshrrev_b32_e32 v14, 2, v15
	s_wait_alu 0xf1ff
	v_cndmask_b32_e64 v5, 0, 1, s1
	v_lshrrev_b32_e32 v15, 8, v6
	s_or_b32 vcc_lo, s0, vcc_lo
	v_and_or_b32 v16, 0x8000, v19, v16
	s_wait_alu 0xfffe
	v_add_co_ci_u32_e32 v14, vcc_lo, 0, v14, vcc_lo
	v_cmp_ne_u32_e32 vcc_lo, 0, v18
	v_and_or_b32 v5, 0xffe, v15, v5
	s_wait_alu 0xfffd
	v_cndmask_b32_e64 v18, 0, 1, vcc_lo
	v_cmp_gt_i32_e32 vcc_lo, 31, v17
	s_delay_alu instid0(VALU_DEP_3)
	v_or_b32_e32 v23, 0x1000, v5
	v_and_or_b32 v7, 0x1ff, v8, v7
	v_lshrrev_b32_e32 v19, 8, v8
	v_lshl_or_b32 v18, v18, 9, 0x7c00
	s_wait_alu 0xfffd
	v_cndmask_b32_e32 v14, 0x7c00, v14, vcc_lo
	v_cmp_eq_u32_e32 vcc_lo, 0x40f, v17
	s_wait_alu 0xfffd
	s_delay_alu instid0(VALU_DEP_2) | instskip(SKIP_1) | instid1(VALU_DEP_2)
	v_cndmask_b32_e32 v14, v14, v18, vcc_lo
	v_cmp_ne_u32_e32 vcc_lo, 0, v7
	v_and_or_b32 v18, 0x8000, v9, v14
	s_wait_alu 0xfffd
	v_cndmask_b32_e64 v7, 0, 1, vcc_lo
	s_delay_alu instid0(VALU_DEP_1) | instskip(SKIP_2) | instid1(VALU_DEP_1)
	v_and_or_b32 v7, 0xffe, v19, v7
	s_wait_loadcnt 0x0
	v_mul_f16_e32 v22, v25, v20
	v_fmac_f16_e32 v22, v24, v1
	v_mul_f16_e32 v1, v25, v1
	s_delay_alu instid0(VALU_DEP_2) | instskip(SKIP_1) | instid1(VALU_DEP_3)
	v_cvt_f32_f16_e32 v10, v22
	v_bfe_u32 v22, v6, 20, 11
	v_fma_f16 v1, v24, v20, -v1
	v_bfe_u32 v20, v8, 20, 11
	s_delay_alu instid0(VALU_DEP_4) | instskip(NEXT) | instid1(VALU_DEP_4)
	v_cvt_f64_f32_e32 v[10:11], v10
	v_sub_nc_u32_e32 v15, 0x3f1, v22
	s_delay_alu instid0(VALU_DEP_4) | instskip(SKIP_1) | instid1(VALU_DEP_3)
	v_cvt_f32_f16_e32 v1, v1
	v_add_nc_u32_e32 v22, 0xfffffc10, v22
	v_med3_i32 v15, v15, 0, 13
	s_delay_alu instid0(VALU_DEP_2) | instskip(NEXT) | instid1(VALU_DEP_2)
	v_lshl_or_b32 v19, v22, 12, v5
	v_lshrrev_b32_e32 v17, v15, v23
	s_delay_alu instid0(VALU_DEP_1) | instskip(SKIP_1) | instid1(VALU_DEP_2)
	v_lshlrev_b32_e32 v9, v15, v17
	v_cvt_f64_f32_e32 v[14:15], v1
	v_cmp_ne_u32_e32 vcc_lo, v9, v23
	v_and_b32_e32 v23, 0xffff, v16
	v_sub_nc_u32_e32 v16, 0x3f1, v20
	s_wait_alu 0xfffd
	v_cndmask_b32_e64 v1, 0, 1, vcc_lo
	s_delay_alu instid0(VALU_DEP_3) | instskip(NEXT) | instid1(VALU_DEP_3)
	v_lshl_or_b32 v23, v18, 16, v23
	v_med3_i32 v24, v16, 0, 13
	v_add_co_u32 v16, vcc_lo, v12, s4
	s_delay_alu instid0(VALU_DEP_4)
	v_or_b32_e32 v1, v17, v1
	s_wait_alu 0xfffd
	v_add_co_ci_u32_e32 v17, vcc_lo, s5, v13, vcc_lo
	v_cmp_gt_i32_e32 vcc_lo, 1, v22
	v_mul_f64_e32 v[9:10], s[8:9], v[10:11]
	v_or_b32_e32 v11, 0x1000, v7
	s_wait_alu 0xfffd
	v_cndmask_b32_e32 v1, v19, v1, vcc_lo
	v_add_co_u32 v18, vcc_lo, v16, s2
	s_wait_alu 0xfffd
	v_add_co_ci_u32_e32 v19, vcc_lo, s3, v17, vcc_lo
	v_lshrrev_b32_e32 v25, v24, v11
	v_and_b32_e32 v26, 7, v1
	global_store_b32 v[16:17], v3, off
	global_store_b32 v[18:19], v23, off
	v_lshrrev_b32_e32 v3, 16, v4
	v_lshrrev_b32_e32 v1, 2, v1
	v_lshlrev_b32_e32 v12, v24, v25
	v_cmp_lt_i32_e32 vcc_lo, 5, v26
	scratch_load_b32 v24, off, off offset:44 th:TH_LOAD_LU ; 4-byte Folded Reload
	v_add_nc_u32_e32 v16, 0xfffffc10, v20
	v_lshrrev_b32_e32 v23, 16, v6
	v_cmp_ne_u32_e64 s0, v12, v11
	s_delay_alu instid0(VALU_DEP_3) | instskip(SKIP_1) | instid1(VALU_DEP_2)
	v_lshl_or_b32 v20, v16, 12, v7
	s_wait_alu 0xf1ff
	v_cndmask_b32_e64 v11, 0, 1, s0
	v_cmp_eq_u32_e64 s0, 3, v26
	scratch_load_b32 v26, off, off offset:64 th:TH_LOAD_LU ; 4-byte Folded Reload
	v_or_b32_e32 v17, v25, v11
	scratch_load_b32 v25, off, off offset:56 th:TH_LOAD_LU ; 4-byte Folded Reload
	s_or_b32 vcc_lo, s0, vcc_lo
	v_mul_f64_e32 v[11:12], s[8:9], v[14:15]
	s_wait_alu 0xfffe
	v_add_co_ci_u32_e32 v1, vcc_lo, 0, v1, vcc_lo
	v_cmp_gt_i32_e32 vcc_lo, 1, v16
	s_wait_alu 0xfffd
	v_cndmask_b32_e32 v15, v20, v17, vcc_lo
	v_and_or_b32 v9, 0x1ff, v10, v9
	v_cmp_gt_i32_e32 vcc_lo, 31, v22
	v_lshrrev_b32_e32 v20, 8, v10
	v_bfe_u32 v21, v10, 20, 11
	v_and_b32_e32 v17, 7, v15
	v_lshrrev_b32_e32 v15, 2, v15
	s_wait_alu 0xfffd
	v_cndmask_b32_e32 v1, 0x7c00, v1, vcc_lo
	v_cmp_ne_u32_e32 vcc_lo, 0, v9
	v_lshrrev_b32_e32 v10, 16, v10
	v_cmp_eq_u32_e64 s0, 3, v17
	s_wait_alu 0xfffd
	v_cndmask_b32_e64 v9, 0, 1, vcc_lo
	v_cmp_ne_u32_e32 vcc_lo, 0, v5
	s_delay_alu instid0(VALU_DEP_2)
	v_and_or_b32 v9, 0xffe, v20, v9
	s_wait_alu 0xfffd
	v_cndmask_b32_e64 v5, 0, 1, vcc_lo
	v_cmp_lt_i32_e32 vcc_lo, 5, v17
	v_sub_nc_u32_e32 v20, 0x3f1, v21
	v_add_nc_u32_e32 v21, 0xfffffc10, v21
	v_or_b32_e32 v17, 0x1000, v9
	v_lshl_or_b32 v5, v5, 9, 0x7c00
	s_or_b32 vcc_lo, s0, vcc_lo
	v_med3_i32 v20, v20, 0, 13
	s_wait_alu 0xfffe
	v_add_co_ci_u32_e32 v15, vcc_lo, 0, v15, vcc_lo
	v_cmp_eq_u32_e32 vcc_lo, 0x40f, v22
	v_and_or_b32 v6, 0x1ff, v12, v11
	v_lshrrev_b32_e32 v22, v20, v17
	s_wait_alu 0xfffd
	v_cndmask_b32_e32 v1, v1, v5, vcc_lo
	v_cmp_gt_i32_e32 vcc_lo, 31, v16
	s_delay_alu instid0(VALU_DEP_3) | instskip(SKIP_1) | instid1(VALU_DEP_4)
	v_lshlrev_b32_e32 v5, v20, v22
	v_bfe_u32 v20, v12, 20, 11
	v_and_or_b32 v1, 0x8000, v23, v1
	s_wait_alu 0xfffd
	v_cndmask_b32_e32 v15, 0x7c00, v15, vcc_lo
	v_cmp_ne_u32_e32 vcc_lo, 0, v7
	s_delay_alu instid0(VALU_DEP_3)
	v_and_b32_e32 v1, 0xffff, v1
	s_wait_alu 0xfffd
	v_cndmask_b32_e64 v7, 0, 1, vcc_lo
	v_cmp_ne_u32_e32 vcc_lo, v5, v17
	v_lshrrev_b32_e32 v17, 8, v12
	v_lshrrev_b32_e32 v12, 16, v12
	s_delay_alu instid0(VALU_DEP_4) | instskip(SKIP_2) | instid1(VALU_DEP_1)
	v_lshl_or_b32 v7, v7, 9, 0x7c00
	s_wait_loadcnt 0x1
	v_mul_f16_e32 v13, v26, v3
	v_fmac_f16_e32 v13, v24, v4
	v_mul_f16_e32 v4, v26, v4
	scratch_load_b32 v26, off, off offset:52 th:TH_LOAD_LU ; 4-byte Folded Reload
	v_cvt_f32_f16_e32 v13, v13
	v_fma_f16 v3, v24, v3, -v4
	scratch_load_b32 v24, off, off offset:48 th:TH_LOAD_LU ; 4-byte Folded Reload
	s_wait_alu 0xfffd
	v_cndmask_b32_e64 v4, 0, 1, vcc_lo
	v_cmp_ne_u32_e32 vcc_lo, 0, v6
	v_cvt_f64_f32_e32 v[13:14], v13
	v_cvt_f32_f16_e32 v3, v3
	s_delay_alu instid0(VALU_DEP_4) | instskip(SKIP_3) | instid1(VALU_DEP_2)
	v_or_b32_e32 v4, v22, v4
	s_wait_alu 0xfffd
	v_cndmask_b32_e64 v11, 0, 1, vcc_lo
	v_cmp_eq_u32_e32 vcc_lo, 0x40f, v16
	v_and_or_b32 v11, 0xffe, v17, v11
	v_lshl_or_b32 v17, v21, 12, v9
	s_wait_alu 0xfffd
	v_cndmask_b32_e32 v7, v15, v7, vcc_lo
	v_cmp_gt_i32_e32 vcc_lo, 1, v21
	v_or_b32_e32 v22, 0x1000, v11
	s_wait_alu 0xfffd
	v_cndmask_b32_e32 v15, v17, v4, vcc_lo
	v_lshrrev_b32_e32 v4, 16, v8
	v_add_nc_u32_e32 v8, 0x1600, v116
	s_delay_alu instid0(VALU_DEP_3) | instskip(NEXT) | instid1(VALU_DEP_3)
	v_and_b32_e32 v17, 7, v15
	v_and_or_b32 v7, 0x8000, v4, v7
	s_delay_alu instid0(VALU_DEP_2) | instskip(SKIP_4) | instid1(VALU_DEP_2)
	v_cmp_lt_i32_e32 vcc_lo, 5, v17
	v_mul_f64_e32 v[5:6], s[8:9], v[13:14]
	v_cvt_f64_f32_e32 v[13:14], v3
	v_sub_nc_u32_e32 v3, 0x3f1, v20
	v_add_nc_u32_e32 v20, 0xfffffc10, v20
	v_med3_i32 v3, v3, 0, 13
	s_delay_alu instid0(VALU_DEP_1) | instskip(NEXT) | instid1(VALU_DEP_1)
	v_lshrrev_b32_e32 v16, v3, v22
	v_lshlrev_b32_e32 v23, v3, v16
	ds_load_2addr_b32 v[3:4], v8 offset0:104 offset1:167
	v_cmp_ne_u32_e64 s0, v23, v22
	v_lshl_or_b32 v22, v7, 16, v1
	v_lshrrev_b32_e32 v1, 2, v15
	s_wait_alu 0xf1ff
	s_delay_alu instid0(VALU_DEP_3) | instskip(SKIP_1) | instid1(VALU_DEP_2)
	v_cndmask_b32_e64 v8, 0, 1, s0
	v_cmp_eq_u32_e64 s0, 3, v17
	v_or_b32_e32 v7, v16, v8
	s_delay_alu instid0(VALU_DEP_2)
	s_or_b32 vcc_lo, s0, vcc_lo
	v_lshl_or_b32 v8, v20, 12, v11
	s_wait_alu 0xfffe
	v_add_co_ci_u32_e32 v1, vcc_lo, 0, v1, vcc_lo
	v_cmp_ne_u32_e32 vcc_lo, 0, v9
	s_wait_dscnt 0x0
	v_lshrrev_b32_e32 v16, 16, v3
	v_and_or_b32 v5, 0x1ff, v6, v5
	v_lshrrev_b32_e32 v17, 8, v6
	v_bfe_u32 v23, v6, 20, 11
	s_wait_alu 0xfffd
	v_cndmask_b32_e64 v9, 0, 1, vcc_lo
	v_cmp_gt_i32_e32 vcc_lo, 1, v20
	v_lshrrev_b32_e32 v6, 16, v6
	s_delay_alu instid0(VALU_DEP_3)
	v_lshl_or_b32 v9, v9, 9, 0x7c00
	s_wait_alu 0xfffd
	v_cndmask_b32_e32 v15, v8, v7, vcc_lo
	v_mul_f64_e32 v[7:8], s[8:9], v[13:14]
	s_wait_loadcnt 0x2
	v_mul_f16_e32 v14, v25, v16
	v_cmp_gt_i32_e32 vcc_lo, 31, v21
	v_and_b32_e32 v13, 7, v15
	v_lshrrev_b32_e32 v15, 2, v15
	s_wait_alu 0xfffd
	v_cndmask_b32_e32 v1, 0x7c00, v1, vcc_lo
	v_cmp_ne_u32_e32 vcc_lo, 0, v5
	v_cmp_eq_u32_e64 s0, 3, v13
	s_wait_alu 0xfffd
	v_cndmask_b32_e64 v5, 0, 1, vcc_lo
	v_cmp_eq_u32_e32 vcc_lo, 0x40f, v21
	s_delay_alu instid0(VALU_DEP_2)
	v_and_or_b32 v5, 0xffe, v17, v5
	s_wait_alu 0xfffd
	v_cndmask_b32_e32 v1, v1, v9, vcc_lo
	v_cmp_lt_i32_e32 vcc_lo, 5, v13
	v_sub_nc_u32_e32 v17, 0x3f1, v23
	v_or_b32_e32 v21, 0x1000, v5
	s_delay_alu instid0(VALU_DEP_4)
	v_and_or_b32 v1, 0x8000, v10, v1
	s_or_b32 vcc_lo, s0, vcc_lo
	s_wait_alu 0xfffe
	v_add_co_ci_u32_e32 v15, vcc_lo, 0, v15, vcc_lo
	v_cmp_ne_u32_e32 vcc_lo, 0, v11
	v_and_b32_e32 v1, 0xffff, v1
	s_wait_alu 0xfffd
	v_cndmask_b32_e64 v11, 0, 1, vcc_lo
	v_cmp_gt_i32_e32 vcc_lo, 31, v20
	v_and_or_b32 v7, 0x1ff, v8, v7
	s_delay_alu instid0(VALU_DEP_3)
	v_lshl_or_b32 v11, v11, 9, 0x7c00
	s_wait_alu 0xfffd
	v_cndmask_b32_e32 v15, 0x7c00, v15, vcc_lo
	v_cmp_eq_u32_e32 vcc_lo, 0x40f, v20
	v_add_nc_u32_e32 v20, 0xfffffc10, v23
	s_wait_alu 0xfffd
	s_delay_alu instid0(VALU_DEP_3)
	v_cndmask_b32_e32 v11, v15, v11, vcc_lo
	s_wait_loadcnt 0x0
	v_fmac_f16_e32 v14, v24, v3
	v_mul_f16_e32 v3, v25, v3
	scratch_load_b32 v25, off, off offset:32 th:TH_LOAD_LU ; 4-byte Folded Reload
	v_cvt_f32_f16_e32 v9, v14
	v_fma_f16 v3, v24, v16, -v3
	v_lshrrev_b32_e32 v16, 8, v8
	s_delay_alu instid0(VALU_DEP_3) | instskip(SKIP_1) | instid1(VALU_DEP_4)
	v_cvt_f64_f32_e32 v[13:14], v9
	v_med3_i32 v9, v17, 0, 13
	v_cvt_f32_f16_e32 v3, v3
	s_delay_alu instid0(VALU_DEP_2) | instskip(NEXT) | instid1(VALU_DEP_1)
	v_lshrrev_b32_e32 v17, v9, v21
	v_lshlrev_b32_e32 v9, v9, v17
	s_delay_alu instid0(VALU_DEP_1) | instskip(NEXT) | instid1(VALU_DEP_4)
	v_cmp_ne_u32_e32 vcc_lo, v9, v21
	v_cvt_f64_f32_e32 v[9:10], v3
	v_and_or_b32 v3, 0x8000, v12, v11
	v_bfe_u32 v21, v8, 20, 11
	v_lshl_or_b32 v12, v20, 12, v5
	s_wait_alu 0xfffd
	v_cndmask_b32_e64 v15, 0, 1, vcc_lo
	v_cmp_ne_u32_e32 vcc_lo, 0, v7
	v_lshl_or_b32 v3, v3, 16, v1
	v_lshrrev_b32_e32 v8, 16, v8
	s_delay_alu instid0(VALU_DEP_4)
	v_or_b32_e32 v11, v17, v15
	s_wait_alu 0xfffd
	v_cndmask_b32_e64 v7, 0, 1, vcc_lo
	v_cmp_gt_i32_e32 vcc_lo, 1, v20
	v_sub_nc_u32_e32 v15, 0x3f1, v21
	v_add_nc_u32_e32 v21, 0xfffffc10, v21
	s_delay_alu instid0(VALU_DEP_4) | instskip(SKIP_3) | instid1(VALU_DEP_3)
	v_and_or_b32 v7, 0xffe, v16, v7
	s_wait_alu 0xfffd
	v_cndmask_b32_e32 v17, v12, v11, vcc_lo
	v_med3_i32 v24, v15, 0, 13
	v_or_b32_e32 v23, 0x1000, v7
	v_mul_f64_e32 v[11:12], s[8:9], v[13:14]
	v_add_co_u32 v13, vcc_lo, v18, s2
	s_wait_alu 0xfffd
	v_add_co_ci_u32_e32 v14, vcc_lo, s3, v19, vcc_lo
	v_lshrrev_b32_e32 v18, v24, v23
	v_and_b32_e32 v1, 7, v17
	v_add_co_u32 v15, vcc_lo, v13, s4
	s_wait_alu 0xfffd
	v_add_co_ci_u32_e32 v16, vcc_lo, s5, v14, vcc_lo
	v_lshlrev_b32_e32 v19, v24, v18
	v_cmp_lt_i32_e32 vcc_lo, 5, v1
	v_cmp_eq_u32_e64 s0, 3, v1
	v_lshrrev_b32_e32 v17, 2, v17
	v_lshrrev_b32_e32 v1, 16, v2
	v_cmp_ne_u32_e64 s1, v19, v23
	v_mul_f64_e32 v[9:10], s[8:9], v[9:10]
	s_or_b32 vcc_lo, s0, vcc_lo
	s_wait_alu 0xfffe
	v_add_co_ci_u32_e32 v17, vcc_lo, 0, v17, vcc_lo
	v_cndmask_b32_e64 v19, 0, 1, s1
	v_cmp_ne_u32_e32 vcc_lo, 0, v5
	v_mul_f16_e32 v23, v26, v1
	s_delay_alu instid0(VALU_DEP_3) | instskip(SKIP_4) | instid1(VALU_DEP_2)
	v_or_b32_e32 v18, v18, v19
	v_lshl_or_b32 v19, v21, 12, v7
	s_wait_alu 0xfffd
	v_cndmask_b32_e64 v5, 0, 1, vcc_lo
	v_cmp_gt_i32_e32 vcc_lo, 1, v21
	v_lshl_or_b32 v5, v5, 9, 0x7c00
	s_wait_alu 0xfffd
	v_cndmask_b32_e32 v19, v19, v18, vcc_lo
	v_cmp_gt_i32_e32 vcc_lo, 31, v20
	v_and_or_b32 v11, 0x1ff, v12, v11
	s_delay_alu instid0(VALU_DEP_3) | instskip(NEXT) | instid1(VALU_DEP_2)
	v_and_b32_e32 v24, 7, v19
	v_cmp_ne_u32_e64 s0, 0, v11
	s_wait_alu 0xf1ff
	s_delay_alu instid0(VALU_DEP_1) | instskip(NEXT) | instid1(VALU_DEP_3)
	v_cndmask_b32_e64 v11, 0, 1, s0
	v_cmp_eq_u32_e64 s0, 3, v24
	s_wait_loadcnt 0x0
	v_fmac_f16_e32 v23, v25, v2
	v_mul_f16_e32 v2, v26, v2
	v_bfe_u32 v26, v10, 20, 11
	s_delay_alu instid0(VALU_DEP_3)
	v_cvt_f32_f16_e32 v18, v23
	s_wait_alu 0xfffd
	v_cndmask_b32_e32 v23, 0x7c00, v17, vcc_lo
	v_cmp_eq_u32_e32 vcc_lo, 0x40f, v20
	v_lshrrev_b32_e32 v20, 8, v12
	v_fma_f16 v1, v25, v1, -v2
	v_and_or_b32 v2, 0x1ff, v10, v9
	v_cvt_f64_f32_e32 v[17:18], v18
	s_wait_alu 0xfffd
	v_cndmask_b32_e32 v5, v23, v5, vcc_lo
	v_cmp_lt_i32_e32 vcc_lo, 5, v24
	v_bfe_u32 v23, v12, 20, 11
	v_and_or_b32 v11, 0xffe, v20, v11
	v_cvt_f32_f16_e32 v1, v1
	v_and_or_b32 v24, 0x8000, v6, v5
	v_lshrrev_b32_e32 v5, 2, v19
	s_or_b32 vcc_lo, s0, vcc_lo
	v_sub_nc_u32_e32 v6, 0x3f1, v23
	v_or_b32_e32 v19, 0x1000, v11
	v_lshrrev_b32_e32 v25, 8, v10
	s_wait_alu 0xfffe
	v_add_co_ci_u32_e32 v5, vcc_lo, 0, v5, vcc_lo
	v_cmp_ne_u32_e32 vcc_lo, 0, v7
	v_med3_i32 v6, v6, 0, 13
	v_lshrrev_b32_e32 v10, 16, v10
	s_wait_alu 0xfffd
	v_cndmask_b32_e64 v7, 0, 1, vcc_lo
	v_cmp_gt_i32_e32 vcc_lo, 31, v21
	v_lshrrev_b32_e32 v20, v6, v19
	s_delay_alu instid0(VALU_DEP_3)
	v_lshl_or_b32 v7, v7, 9, 0x7c00
	s_wait_alu 0xfffd
	v_cndmask_b32_e32 v5, 0x7c00, v5, vcc_lo
	v_cmp_eq_u32_e32 vcc_lo, 0x40f, v21
	v_lshlrev_b32_e32 v9, v6, v20
	s_wait_alu 0xfffd
	s_delay_alu instid0(VALU_DEP_3) | instskip(SKIP_3) | instid1(VALU_DEP_4)
	v_cndmask_b32_e32 v7, v5, v7, vcc_lo
	v_cmp_ne_u32_e32 vcc_lo, 0, v2
	v_add_nc_u32_e32 v2, 0xe00, v116
	v_cvt_f64_f32_e32 v[5:6], v1
	v_and_or_b32 v7, 0x8000, v8, v7
	s_wait_alu 0xfffd
	v_cndmask_b32_e64 v21, 0, 1, vcc_lo
	v_cmp_ne_u32_e32 vcc_lo, v9, v19
	v_add_nc_u32_e32 v19, 0xfffffc10, v23
	v_and_b32_e32 v8, 0xffff, v24
	ds_load_2addr_b32 v[1:2], v2 offset0:112 offset1:175
	global_store_b32 v[13:14], v22, off
	global_store_b32 v[15:16], v3, off
	s_wait_alu 0xfffd
	v_cndmask_b32_e64 v9, 0, 1, vcc_lo
	v_cmp_gt_i32_e32 vcc_lo, 1, v19
	scratch_load_b32 v27, off, off offset:40 th:TH_LOAD_LU ; 4-byte Folded Reload
	v_lshl_or_b32 v3, v7, 16, v8
	v_sub_nc_u32_e32 v23, 0x3f1, v26
	v_or_b32_e32 v9, v20, v9
	v_lshl_or_b32 v20, v19, 12, v11
	v_mul_f64_e32 v[17:18], s[8:9], v[17:18]
	v_and_or_b32 v21, 0xffe, v25, v21
	v_med3_i32 v23, v23, 0, 13
	v_cmp_eq_u32_e64 s1, 0x40f, v19
	s_wait_alu 0xfffd
	v_cndmask_b32_e32 v9, v20, v9, vcc_lo
	v_add_co_u32 v7, vcc_lo, v15, s2
	s_wait_alu 0xfffd
	v_add_co_ci_u32_e32 v8, vcc_lo, s3, v16, vcc_lo
	v_add_nc_u32_e32 v16, 0xfffffc10, v26
	scratch_load_b32 v26, off, off offset:36 th:TH_LOAD_LU ; 4-byte Folded Reload
	v_or_b32_e32 v25, 0x1000, v21
	v_and_b32_e32 v13, 7, v9
	s_wait_dscnt 0x0
	v_lshrrev_b32_e32 v22, 16, v1
	v_lshrrev_b32_e32 v9, 2, v9
	global_store_b32 v[7:8], v3, off
	v_lshrrev_b32_e32 v20, v23, v25
	v_cmp_lt_i32_e32 vcc_lo, 5, v13
	s_delay_alu instid0(VALU_DEP_2) | instskip(SKIP_1) | instid1(VALU_DEP_2)
	v_lshlrev_b32_e32 v14, v23, v20
	v_mul_f64_e32 v[5:6], s[8:9], v[5:6]
	v_cmp_ne_u32_e64 s0, v14, v25
	s_wait_alu 0xf1ff
	s_delay_alu instid0(VALU_DEP_1) | instskip(SKIP_1) | instid1(VALU_DEP_2)
	v_cndmask_b32_e64 v14, 0, 1, s0
	v_cmp_eq_u32_e64 s0, 3, v13
	v_or_b32_e32 v13, v20, v14
	s_delay_alu instid0(VALU_DEP_2)
	s_or_b32 vcc_lo, s0, vcc_lo
	v_lshl_or_b32 v14, v16, 12, v21
	s_wait_alu 0xfffe
	v_add_co_ci_u32_e32 v9, vcc_lo, 0, v9, vcc_lo
	v_and_or_b32 v17, 0x1ff, v18, v17
	v_cmp_gt_i32_e32 vcc_lo, 1, v16
	v_bfe_u32 v23, v18, 20, 11
	s_wait_alu 0xfffd
	v_cndmask_b32_e32 v20, v14, v13, vcc_lo
	v_cmp_ne_u32_e32 vcc_lo, 0, v17
	v_lshrrev_b32_e32 v17, 8, v18
	v_lshrrev_b32_e32 v18, 16, v18
	s_delay_alu instid0(VALU_DEP_4) | instskip(SKIP_1) | instid1(VALU_DEP_2)
	v_and_b32_e32 v24, 7, v20
	v_lshrrev_b32_e32 v20, 2, v20
	v_cmp_eq_u32_e64 s0, 3, v24
	v_and_or_b32 v5, 0x1ff, v6, v5
	s_wait_loadcnt 0x1
	v_mul_f16_e32 v15, v27, v22
	s_wait_loadcnt 0x0
	s_delay_alu instid0(VALU_DEP_1) | instskip(SKIP_1) | instid1(VALU_DEP_2)
	v_fmac_f16_e32 v15, v26, v1
	v_mul_f16_e32 v1, v27, v1
	v_cvt_f32_f16_e32 v15, v15
	s_delay_alu instid0(VALU_DEP_2)
	v_fma_f16 v1, v26, v22, -v1
	scratch_load_b32 v26, off, off offset:12 th:TH_LOAD_LU ; 4-byte Folded Reload
	v_cvt_f64_f32_e32 v[13:14], v15
	s_wait_alu 0xfffd
	v_cndmask_b32_e64 v15, 0, 1, vcc_lo
	v_cmp_ne_u32_e32 vcc_lo, 0, v11
	v_cvt_f32_f16_e32 v1, v1
	s_delay_alu instid0(VALU_DEP_3)
	v_and_or_b32 v15, 0xffe, v17, v15
	v_sub_nc_u32_e32 v17, 0x3f1, v23
	s_wait_alu 0xfffd
	v_cndmask_b32_e64 v11, 0, 1, vcc_lo
	v_cmp_gt_i32_e32 vcc_lo, 31, v19
	v_add_nc_u32_e32 v23, 0xfffffc10, v23
	v_or_b32_e32 v25, 0x1000, v15
	v_med3_i32 v17, v17, 0, 13
	v_lshl_or_b32 v11, v11, 9, 0x7c00
	s_wait_alu 0xfffd
	v_cndmask_b32_e32 v9, 0x7c00, v9, vcc_lo
	v_cmp_lt_i32_e32 vcc_lo, 5, v24
	v_lshrrev_b32_e32 v24, 8, v6
	v_lshrrev_b32_e32 v19, v17, v25
	s_delay_alu instid0(VALU_DEP_4)
	v_cndmask_b32_e64 v9, v9, v11, s1
	s_or_b32 vcc_lo, s0, vcc_lo
	s_wait_alu 0xfffe
	v_add_co_ci_u32_e32 v11, vcc_lo, 0, v20, vcc_lo
	v_lshrrev_b32_e32 v20, 16, v12
	v_lshlrev_b32_e32 v12, v17, v19
	v_cmp_gt_i32_e32 vcc_lo, 31, v16
	s_delay_alu instid0(VALU_DEP_3)
	v_and_or_b32 v9, 0x8000, v20, v9
	s_wait_alu 0xfffd
	v_cndmask_b32_e32 v17, 0x7c00, v11, vcc_lo
	v_cmp_ne_u32_e32 vcc_lo, v12, v25
	v_bfe_u32 v25, v6, 20, 11
	v_and_b32_e32 v20, 0xffff, v9
	s_wait_alu 0xfffd
	v_cndmask_b32_e64 v22, 0, 1, vcc_lo
	v_cmp_ne_u32_e32 vcc_lo, 0, v5
	v_mul_f64_e32 v[11:12], s[8:9], v[13:14]
	v_cvt_f64_f32_e32 v[13:14], v1
	s_delay_alu instid0(VALU_DEP_4)
	v_or_b32_e32 v19, v19, v22
	s_wait_alu 0xfffd
	v_cndmask_b32_e64 v5, 0, 1, vcc_lo
	v_cmp_ne_u32_e32 vcc_lo, 0, v21
	v_sub_nc_u32_e32 v21, 0x3f1, v25
	v_lshl_or_b32 v22, v23, 12, v15
	s_delay_alu instid0(VALU_DEP_4)
	v_and_or_b32 v5, 0xffe, v24, v5
	s_wait_alu 0xfffd
	v_cndmask_b32_e64 v1, 0, 1, vcc_lo
	v_cmp_gt_i32_e32 vcc_lo, 1, v23
	v_med3_i32 v21, v21, 0, 13
	v_or_b32_e32 v24, 0x1000, v5
	s_delay_alu instid0(VALU_DEP_4) | instskip(SKIP_4) | instid1(VALU_DEP_3)
	v_lshl_or_b32 v1, v1, 9, 0x7c00
	s_wait_alu 0xfffd
	v_cndmask_b32_e32 v19, v22, v19, vcc_lo
	v_cmp_eq_u32_e32 vcc_lo, 0x40f, v16
	v_lshrrev_b32_e32 v16, v21, v24
	v_lshrrev_b32_e32 v9, 2, v19
	s_wait_alu 0xfffd
	v_cndmask_b32_e32 v1, v17, v1, vcc_lo
	v_and_b32_e32 v17, 7, v19
	v_lshlrev_b32_e32 v3, v21, v16
	s_delay_alu instid0(VALU_DEP_3) | instskip(NEXT) | instid1(VALU_DEP_3)
	v_and_or_b32 v1, 0x8000, v10, v1
	v_cmp_lt_i32_e32 vcc_lo, 5, v17
	v_cmp_eq_u32_e64 s0, 3, v17
	v_add_nc_u32_e32 v17, 0xfffffc10, v25
	scratch_load_b32 v25, off, off offset:24 th:TH_LOAD_LU ; 4-byte Folded Reload
	v_cmp_ne_u32_e64 s1, v3, v24
	scratch_load_b32 v24, off, off offset:20 th:TH_LOAD_LU ; 4-byte Folded Reload
	s_or_b32 vcc_lo, s0, vcc_lo
	v_lshl_or_b32 v20, v1, 16, v20
	s_wait_alu 0xfffe
	v_add_co_ci_u32_e32 v19, vcc_lo, 0, v9, vcc_lo
	v_cndmask_b32_e64 v3, 0, 1, s1
	v_cmp_ne_u32_e32 vcc_lo, 0, v15
	v_lshl_or_b32 v9, v17, 12, v5
	v_and_or_b32 v11, 0x1ff, v12, v11
	v_lshrrev_b32_e32 v21, 8, v12
	v_or_b32_e32 v3, v16, v3
	s_wait_alu 0xfffd
	v_cndmask_b32_e64 v15, 0, 1, vcc_lo
	v_cmp_gt_i32_e32 vcc_lo, 1, v17
	v_lshrrev_b32_e32 v16, 16, v4
	v_bfe_u32 v22, v12, 20, 11
	v_cmp_eq_u32_e64 s1, 0x40f, v23
	v_lshl_or_b32 v15, v15, 9, 0x7c00
	s_wait_alu 0xfffd
	v_cndmask_b32_e32 v3, v9, v3, vcc_lo
	v_cmp_gt_i32_e32 vcc_lo, 31, v23
	v_mul_f64_e32 v[9:10], s[8:9], v[13:14]
	v_lshrrev_b32_e32 v12, 16, v12
	s_delay_alu instid0(VALU_DEP_4)
	v_and_b32_e32 v14, 7, v3
	s_wait_alu 0xfffd
	v_cndmask_b32_e32 v19, 0x7c00, v19, vcc_lo
	v_cmp_ne_u32_e32 vcc_lo, 0, v11
	v_lshrrev_b32_e32 v3, 2, v3
	v_cmp_eq_u32_e64 s0, 3, v14
	s_wait_alu 0xf1ff
	v_cndmask_b32_e64 v15, v19, v15, s1
	s_wait_alu 0xfffd
	v_cndmask_b32_e64 v11, 0, 1, vcc_lo
	v_cmp_lt_i32_e32 vcc_lo, 5, v14
	s_delay_alu instid0(VALU_DEP_3) | instskip(NEXT) | instid1(VALU_DEP_3)
	v_and_or_b32 v15, 0x8000, v18, v15
	v_and_or_b32 v11, 0xffe, v21, v11
	s_or_b32 vcc_lo, s0, vcc_lo
	v_sub_nc_u32_e32 v21, 0x3f1, v22
	s_wait_alu 0xfffe
	v_add_co_ci_u32_e32 v3, vcc_lo, 0, v3, vcc_lo
	v_cmp_ne_u32_e32 vcc_lo, 0, v5
	v_or_b32_e32 v19, 0x1000, v11
	v_med3_i32 v21, v21, 0, 13
	v_and_b32_e32 v15, 0xffff, v15
	s_wait_alu 0xfffd
	v_cndmask_b32_e64 v5, 0, 1, vcc_lo
	v_cmp_gt_i32_e32 vcc_lo, 31, v17
	v_lshrrev_b32_e32 v23, v21, v19
	s_delay_alu instid0(VALU_DEP_3) | instskip(SKIP_4) | instid1(VALU_DEP_2)
	v_lshl_or_b32 v5, v5, 9, 0x7c00
	s_wait_alu 0xfffd
	v_cndmask_b32_e32 v3, 0x7c00, v3, vcc_lo
	v_cmp_eq_u32_e32 vcc_lo, 0x40f, v17
	s_wait_alu 0xfffd
	v_dual_cndmask_b32 v17, v3, v5 :: v_dual_lshlrev_b32 v18, v21, v23
	s_delay_alu instid0(VALU_DEP_1) | instskip(SKIP_4) | instid1(VALU_DEP_1)
	v_cmp_ne_u32_e32 vcc_lo, v18, v19
	v_lshrrev_b32_e32 v18, 8, v10
	v_bfe_u32 v19, v10, 20, 11
	s_wait_alu 0xfffd
	v_cndmask_b32_e64 v5, 0, 1, vcc_lo
	v_or_b32_e32 v5, v23, v5
	v_lshrrev_b32_e32 v23, 16, v0
	s_wait_loadcnt 0x1
	v_mul_f16_e32 v13, v25, v16
	s_wait_loadcnt 0x0
	s_delay_alu instid0(VALU_DEP_1) | instskip(SKIP_1) | instid1(VALU_DEP_2)
	v_fmac_f16_e32 v13, v24, v4
	v_mul_f16_e32 v4, v25, v4
	v_cvt_f32_f16_e32 v13, v13
	s_delay_alu instid0(VALU_DEP_2)
	v_fma_f16 v3, v24, v16, -v4
	scratch_load_b32 v24, off, off offset:28 th:TH_LOAD_LU ; 4-byte Folded Reload
	v_and_or_b32 v4, 0x1ff, v10, v9
	v_add_nc_u32_e32 v9, 0xfffffc10, v22
	v_cvt_f64_f32_e32 v[13:14], v13
	v_cvt_f32_f16_e32 v3, v3
	v_lshrrev_b32_e32 v22, 16, v6
	v_cmp_ne_u32_e32 vcc_lo, 0, v4
	v_lshl_or_b32 v21, v9, 12, v11
	s_delay_alu instid0(VALU_DEP_4) | instskip(NEXT) | instid1(VALU_DEP_4)
	v_cvt_f64_f32_e32 v[3:4], v3
	v_and_or_b32 v1, 0x8000, v22, v17
	s_wait_alu 0xfffd
	v_cndmask_b32_e64 v16, 0, 1, vcc_lo
	v_cmp_gt_i32_e32 vcc_lo, 1, v9
	s_delay_alu instid0(VALU_DEP_3) | instskip(NEXT) | instid1(VALU_DEP_3)
	v_lshl_or_b32 v22, v1, 16, v15
	v_and_or_b32 v18, 0xffe, v18, v16
	v_sub_nc_u32_e32 v16, 0x3f1, v19
	s_wait_alu 0xfffd
	v_cndmask_b32_e32 v21, v21, v5, vcc_lo
	v_add_co_u32 v7, vcc_lo, v7, s2
	s_wait_alu 0xfffd
	v_add_co_ci_u32_e32 v8, vcc_lo, s3, v8, vcc_lo
	v_add_nc_u32_e32 v19, 0xfffffc10, v19
	s_delay_alu instid0(VALU_DEP_1)
	v_lshl_or_b32 v15, v19, 12, v18
	v_mul_f64_e32 v[5:6], s[8:9], v[13:14]
	v_or_b32_e32 v13, 0x1000, v18
	v_med3_i32 v14, v16, 0, 13
	v_and_b32_e32 v16, 7, v21
	v_mul_f64_e32 v[3:4], s[8:9], v[3:4]
	s_delay_alu instid0(VALU_DEP_3) | instskip(NEXT) | instid1(VALU_DEP_3)
	v_lshrrev_b32_e32 v17, v14, v13
	v_cmp_lt_i32_e32 vcc_lo, 5, v16
	v_cmp_eq_u32_e64 s0, 3, v16
	s_delay_alu instid0(VALU_DEP_3) | instskip(SKIP_1) | instid1(VALU_DEP_3)
	v_lshlrev_b32_e32 v1, v14, v17
	v_lshrrev_b32_e32 v14, 2, v21
	s_or_b32 vcc_lo, s0, vcc_lo
	s_delay_alu instid0(VALU_DEP_2) | instskip(SKIP_1) | instid1(VALU_DEP_2)
	v_cmp_ne_u32_e64 s1, v1, v13
	s_wait_alu 0xfffe
	v_add_co_ci_u32_e32 v14, vcc_lo, 0, v14, vcc_lo
	v_cmp_ne_u32_e32 vcc_lo, 0, v11
	s_wait_alu 0xf1ff
	v_cndmask_b32_e64 v1, 0, 1, s1
	s_wait_alu 0xfffd
	v_cndmask_b32_e64 v11, 0, 1, vcc_lo
	v_cmp_gt_i32_e32 vcc_lo, 1, v19
	s_delay_alu instid0(VALU_DEP_3) | instskip(NEXT) | instid1(VALU_DEP_3)
	v_or_b32_e32 v1, v17, v1
	v_lshl_or_b32 v11, v11, 9, 0x7c00
	s_wait_alu 0xfffd
	s_delay_alu instid0(VALU_DEP_2) | instskip(SKIP_1) | instid1(VALU_DEP_2)
	v_cndmask_b32_e32 v1, v15, v1, vcc_lo
	v_cmp_gt_i32_e32 vcc_lo, 31, v9
	v_and_b32_e32 v21, 7, v1
	v_and_or_b32 v5, 0x1ff, v6, v5
	s_wait_alu 0xfffd
	v_cndmask_b32_e32 v17, 0x7c00, v14, vcc_lo
	v_add_co_u32 v15, vcc_lo, v7, s4
	s_wait_alu 0xfffd
	v_add_co_ci_u32_e32 v16, vcc_lo, s5, v8, vcc_lo
	v_cmp_eq_u32_e32 vcc_lo, 0x40f, v9
	v_cmp_ne_u32_e64 s0, 0, v5
	v_lshrrev_b32_e32 v1, 2, v1
	v_and_or_b32 v3, 0x1ff, v4, v3
	v_bfe_u32 v25, v4, 20, 11
	s_wait_alu 0xfffd
	v_cndmask_b32_e32 v9, v17, v11, vcc_lo
	v_cmp_lt_i32_e32 vcc_lo, 5, v21
	s_wait_alu 0xf1ff
	v_cndmask_b32_e64 v5, 0, 1, s0
	v_cmp_eq_u32_e64 s0, 3, v21
	v_lshrrev_b32_e32 v11, 8, v6
	v_bfe_u32 v17, v6, 20, 11
	v_and_or_b32 v12, 0x8000, v12, v9
	global_store_b32 v[7:8], v20, off
	global_store_b32 v[15:16], v22, off
	s_or_b32 vcc_lo, s0, vcc_lo
	v_and_or_b32 v5, 0xffe, v11, v5
	s_wait_alu 0xfffe
	v_add_co_ci_u32_e32 v1, vcc_lo, 0, v1, vcc_lo
	v_cmp_ne_u32_e32 vcc_lo, 0, v18
	v_sub_nc_u32_e32 v11, 0x3f1, v17
	v_or_b32_e32 v21, 0x1000, v5
	v_and_b32_e32 v12, 0xffff, v12
	v_lshrrev_b32_e32 v6, 16, v6
	s_wait_alu 0xfffd
	v_cndmask_b32_e64 v18, 0, 1, vcc_lo
	v_cmp_gt_i32_e32 vcc_lo, 31, v19
	v_med3_i32 v11, v11, 0, 13
	s_delay_alu instid0(VALU_DEP_3)
	v_lshl_or_b32 v18, v18, 9, 0x7c00
	s_wait_alu 0xfffd
	v_cndmask_b32_e32 v1, 0x7c00, v1, vcc_lo
	v_cmp_eq_u32_e32 vcc_lo, 0x40f, v19
	v_lshrrev_b32_e32 v9, v11, v21
	v_lshrrev_b32_e32 v19, 16, v10
	s_wait_alu 0xfffd
	v_cndmask_b32_e32 v18, v1, v18, vcc_lo
	v_cmp_ne_u32_e32 vcc_lo, 0, v3
	v_lshlrev_b32_e32 v10, v11, v9
	s_wait_alu 0xfffd
	v_cndmask_b32_e64 v3, 0, 1, vcc_lo
	s_delay_alu instid0(VALU_DEP_2)
	v_cmp_ne_u32_e32 vcc_lo, v10, v21
	s_wait_alu 0xfffd
	v_cndmask_b32_e64 v10, 0, 1, vcc_lo
	s_wait_loadcnt 0x0
	v_mul_f16_e32 v13, v24, v23
	v_mul_f16_e32 v11, v24, v0
	v_lshrrev_b32_e32 v24, 8, v4
	v_lshrrev_b32_e32 v4, 16, v4
	s_delay_alu instid0(VALU_DEP_4) | instskip(NEXT) | instid1(VALU_DEP_4)
	v_fmac_f16_e32 v13, v26, v0
	v_fma_f16 v11, v26, v23, -v11
	s_delay_alu instid0(VALU_DEP_4) | instskip(SKIP_4) | instid1(VALU_DEP_3)
	v_and_or_b32 v3, 0xffe, v24, v3
	scratch_load_b32 v24, off, off offset:16 th:TH_LOAD_LU ; 4-byte Folded Reload
	v_cvt_f32_f16_e32 v13, v13
	v_cvt_f32_f16_e32 v11, v11
	v_or_b32_e32 v23, 0x1000, v3
	v_cvt_f64_f32_e32 v[13:14], v13
	s_delay_alu instid0(VALU_DEP_1)
	v_mul_f64_e32 v[0:1], s[8:9], v[13:14]
	v_sub_nc_u32_e32 v14, 0x3f1, v25
	v_add_nc_u32_e32 v13, 0xfffffc10, v17
	v_or_b32_e32 v17, v9, v10
	v_cvt_f64_f32_e32 v[9:10], v11
	v_and_or_b32 v11, 0x8000, v19, v18
	v_med3_i32 v14, v14, 0, 13
	v_lshl_or_b32 v21, v13, 12, v5
	v_cmp_gt_i32_e32 vcc_lo, 1, v13
	v_cmp_eq_u32_e64 s1, 0x40f, v13
	v_lshl_or_b32 v19, v11, 16, v12
	v_lshrrev_b32_e32 v18, v14, v23
	s_wait_alu 0xfffd
	v_cndmask_b32_e32 v17, v21, v17, vcc_lo
	v_add_co_u32 v7, vcc_lo, v15, s2
	s_delay_alu instid0(VALU_DEP_3) | instskip(SKIP_1) | instid1(VALU_DEP_4)
	v_lshlrev_b32_e32 v12, v14, v18
	v_lshrrev_b32_e32 v14, 16, v2
	v_and_b32_e32 v11, 7, v17
	s_wait_alu 0xfffd
	v_add_co_ci_u32_e32 v8, vcc_lo, s3, v16, vcc_lo
	v_cmp_ne_u32_e64 s0, v12, v23
	scratch_load_b32 v23, off, off th:TH_LOAD_LU ; 4-byte Folded Reload
	v_cmp_lt_i32_e32 vcc_lo, 5, v11
	v_add_nc_u32_e32 v15, 0xfffffc10, v25
	s_wait_alu 0xf1ff
	v_cndmask_b32_e64 v12, 0, 1, s0
	v_cmp_eq_u32_e64 s0, 3, v11
	v_lshrrev_b32_e32 v11, 2, v17
	v_lshl_or_b32 v17, v15, 12, v3
	s_delay_alu instid0(VALU_DEP_4) | instskip(NEXT) | instid1(VALU_DEP_4)
	v_or_b32_e32 v12, v18, v12
	s_or_b32 vcc_lo, s0, vcc_lo
	s_wait_alu 0xfffe
	v_add_co_ci_u32_e32 v18, vcc_lo, 0, v11, vcc_lo
	v_cmp_gt_i32_e32 vcc_lo, 1, v15
	v_and_or_b32 v0, 0x1ff, v1, v0
	v_bfe_u32 v20, v1, 20, 11
	v_mul_f64_e32 v[9:10], s[8:9], v[9:10]
	s_delay_alu instid0(VALU_DEP_1) | instskip(SKIP_3) | instid1(VALU_DEP_1)
	v_and_or_b32 v9, 0x1ff, v10, v9
	s_wait_loadcnt 0x1
	v_mul_f16_e32 v16, v24, v14
	s_wait_loadcnt 0x0
	v_fmac_f16_e32 v16, v23, v2
	s_delay_alu instid0(VALU_DEP_1)
	v_cvt_f32_f16_e32 v11, v16
	s_wait_alu 0xfffd
	v_cndmask_b32_e32 v16, v17, v12, vcc_lo
	v_cmp_ne_u32_e32 vcc_lo, 0, v0
	v_lshrrev_b32_e32 v17, 8, v1
	v_cvt_f64_f32_e32 v[11:12], v11
	s_delay_alu instid0(VALU_DEP_4)
	v_and_b32_e32 v21, 7, v16
	s_wait_alu 0xfffd
	v_cndmask_b32_e64 v0, 0, 1, vcc_lo
	v_cmp_ne_u32_e32 vcc_lo, 0, v5
	v_lshrrev_b32_e32 v16, 2, v16
	v_cmp_eq_u32_e64 s0, 3, v21
	s_delay_alu instid0(VALU_DEP_4)
	v_and_or_b32 v0, 0xffe, v17, v0
	s_wait_alu 0xfffd
	v_cndmask_b32_e64 v5, 0, 1, vcc_lo
	v_cmp_gt_i32_e32 vcc_lo, 31, v13
	v_sub_nc_u32_e32 v17, 0x3f1, v20
	v_or_b32_e32 v22, 0x1000, v0
	s_delay_alu instid0(VALU_DEP_4) | instskip(SKIP_4) | instid1(VALU_DEP_3)
	v_lshl_or_b32 v5, v5, 9, 0x7c00
	s_wait_alu 0xfffd
	v_cndmask_b32_e32 v18, 0x7c00, v18, vcc_lo
	v_cmp_lt_i32_e32 vcc_lo, 5, v21
	v_med3_i32 v17, v17, 0, 13
	v_cndmask_b32_e64 v5, v18, v5, s1
	s_or_b32 vcc_lo, s0, vcc_lo
	s_delay_alu instid0(VALU_DEP_2)
	v_lshrrev_b32_e32 v13, v17, v22
	s_wait_alu 0xfffe
	v_add_co_ci_u32_e32 v16, vcc_lo, 0, v16, vcc_lo
	v_cmp_ne_u32_e32 vcc_lo, 0, v3
	v_and_or_b32 v6, 0x8000, v6, v5
	v_lshlrev_b32_e32 v17, v17, v13
	s_wait_alu 0xfffd
	v_cndmask_b32_e64 v3, 0, 1, vcc_lo
	v_cmp_gt_i32_e32 vcc_lo, 31, v15
	v_and_b32_e32 v6, 0xffff, v6
	s_delay_alu instid0(VALU_DEP_3)
	v_lshl_or_b32 v3, v3, 9, 0x7c00
	s_wait_alu 0xfffd
	v_cndmask_b32_e32 v16, 0x7c00, v16, vcc_lo
	v_cmp_ne_u32_e32 vcc_lo, v17, v22
	scratch_load_b32 v22, off, off offset:4 th:TH_LOAD_LU ; 4-byte Folded Reload
	ds_load_b32 v17, v116 offset:6552
	s_wait_alu 0xfffd
	v_cndmask_b32_e64 v5, 0, 1, vcc_lo
	v_cmp_eq_u32_e32 vcc_lo, 0x40f, v15
	s_delay_alu instid0(VALU_DEP_2)
	v_or_b32_e32 v5, v13, v5
	v_mul_f16_e32 v13, v24, v2
	s_wait_alu 0xfffd
	v_cndmask_b32_e32 v15, v16, v3, vcc_lo
	v_mul_f64_e32 v[2:3], s[8:9], v[11:12]
	v_add_nc_u32_e32 v16, 0xfffffc10, v20
	v_fma_f16 v12, v23, v14, -v13
	scratch_load_b32 v23, off, off offset:8 th:TH_LOAD_LU ; 4-byte Folded Reload
	v_bfe_u32 v13, v10, 20, 11
	v_lshl_or_b32 v11, v16, 12, v0
	v_cmp_gt_i32_e32 vcc_lo, 1, v16
	v_and_or_b32 v14, 0x8000, v4, v15
	s_wait_dscnt 0x0
	v_lshrrev_b32_e32 v18, 16, v17
	s_wait_alu 0xfffd
	v_cndmask_b32_e32 v11, v11, v5, vcc_lo
	v_cmp_ne_u32_e32 vcc_lo, 0, v9
	v_cvt_f32_f16_e32 v5, v12
	v_lshrrev_b32_e32 v12, 8, v10
	v_lshl_or_b32 v6, v14, 16, v6
	v_and_b32_e32 v15, 7, v11
	s_wait_alu 0xfffd
	v_cndmask_b32_e64 v9, 0, 1, vcc_lo
	v_cvt_f64_f32_e32 v[4:5], v5
	v_lshrrev_b32_e32 v11, 2, v11
	v_cmp_lt_i32_e32 vcc_lo, 5, v15
	s_delay_alu instid0(VALU_DEP_4) | instskip(SKIP_2) | instid1(VALU_DEP_3)
	v_and_or_b32 v9, 0xffe, v12, v9
	v_sub_nc_u32_e32 v12, 0x3f1, v13
	v_cmp_eq_u32_e64 s0, 3, v15
	v_or_b32_e32 v20, 0x1000, v9
	s_delay_alu instid0(VALU_DEP_3) | instskip(NEXT) | instid1(VALU_DEP_3)
	v_med3_i32 v12, v12, 0, 13
	s_or_b32 vcc_lo, s0, vcc_lo
	s_wait_alu 0xfffe
	v_add_co_ci_u32_e32 v11, vcc_lo, 0, v11, vcc_lo
	s_delay_alu instid0(VALU_DEP_2) | instskip(SKIP_2) | instid1(VALU_DEP_3)
	v_lshrrev_b32_e32 v14, v12, v20
	v_cmp_ne_u32_e32 vcc_lo, 0, v0
	v_and_or_b32 v2, 0x1ff, v3, v2
	v_lshlrev_b32_e32 v15, v12, v14
	s_wait_alu 0xfffd
	v_cndmask_b32_e64 v0, 0, 1, vcc_lo
	v_cmp_gt_i32_e32 vcc_lo, 31, v16
	s_delay_alu instid0(VALU_DEP_2) | instskip(SKIP_1) | instid1(VALU_DEP_1)
	v_lshl_or_b32 v0, v0, 9, 0x7c00
	v_mul_f64_e32 v[4:5], s[8:9], v[4:5]
	v_and_or_b32 v4, 0x1ff, v5, v4
	s_wait_loadcnt 0x0
	v_mul_f16_e32 v21, v23, v18
	s_delay_alu instid0(VALU_DEP_1) | instskip(NEXT) | instid1(VALU_DEP_1)
	v_fmac_f16_e32 v21, v22, v17
	v_cvt_f32_f16_e32 v12, v21
	s_wait_alu 0xfffd
	v_cndmask_b32_e32 v21, 0x7c00, v11, vcc_lo
	v_cmp_ne_u32_e32 vcc_lo, v15, v20
	v_add_nc_u32_e32 v20, 0xfffffc10, v13
	v_mul_f16_e32 v13, v23, v17
	v_cvt_f64_f32_e32 v[11:12], v12
	v_lshrrev_b32_e32 v17, 8, v3
	s_wait_alu 0xfffd
	v_cndmask_b32_e64 v15, 0, 1, vcc_lo
	v_cmp_ne_u32_e32 vcc_lo, 0, v2
	v_fma_f16 v13, v22, v18, -v13
	v_lshl_or_b32 v18, v20, 12, v9
	s_delay_alu instid0(VALU_DEP_4)
	v_or_b32_e32 v14, v14, v15
	s_wait_alu 0xfffd
	v_cndmask_b32_e64 v2, 0, 1, vcc_lo
	v_bfe_u32 v15, v3, 20, 11
	v_cmp_gt_i32_e32 vcc_lo, 1, v20
	v_cvt_f32_f16_e32 v13, v13
	v_lshrrev_b32_e32 v3, 16, v3
	v_and_or_b32 v2, 0xffe, v17, v2
	v_sub_nc_u32_e32 v17, 0x3f1, v15
	s_wait_alu 0xfffd
	v_cndmask_b32_e32 v18, v18, v14, vcc_lo
	v_cmp_eq_u32_e32 vcc_lo, 0x40f, v16
	v_cvt_f64_f32_e32 v[13:14], v13
	v_or_b32_e32 v22, 0x1000, v2
	v_med3_i32 v17, v17, 0, 13
	s_wait_alu 0xfffd
	v_dual_cndmask_b32 v16, v21, v0 :: v_dual_and_b32 v23, 7, v18
	v_add_co_u32 v0, vcc_lo, v7, s2
	s_delay_alu instid0(VALU_DEP_3)
	v_lshrrev_b32_e32 v24, v17, v22
	v_lshrrev_b32_e32 v21, 16, v1
	s_wait_alu 0xfffd
	v_add_co_ci_u32_e32 v1, vcc_lo, s3, v8, vcc_lo
	v_cmp_lt_i32_e32 vcc_lo, 5, v23
	v_cmp_eq_u32_e64 s0, 3, v23
	v_lshrrev_b32_e32 v18, 2, v18
	v_lshlrev_b32_e32 v17, v17, v24
	v_add_nc_u32_e32 v15, 0xfffffc10, v15
	v_and_or_b32 v16, 0x8000, v21, v16
	s_or_b32 vcc_lo, s0, vcc_lo
	s_wait_alu 0xfffe
	v_add_co_ci_u32_e32 v18, vcc_lo, 0, v18, vcc_lo
	v_cmp_ne_u32_e64 s1, v17, v22
	v_cmp_ne_u32_e32 vcc_lo, 0, v9
	v_mul_f64_e32 v[11:12], s[8:9], v[11:12]
	v_lshl_or_b32 v21, v15, 12, v2
	v_and_b32_e32 v16, 0xffff, v16
	s_wait_alu 0xf1ff
	v_cndmask_b32_e64 v17, 0, 1, s1
	s_wait_alu 0xfffd
	v_cndmask_b32_e64 v9, 0, 1, vcc_lo
	v_cmp_gt_i32_e32 vcc_lo, 31, v20
	v_lshrrev_b32_e32 v22, 8, v5
	v_or_b32_e32 v17, v24, v17
	s_delay_alu instid0(VALU_DEP_4)
	v_lshl_or_b32 v9, v9, 9, 0x7c00
	s_wait_alu 0xfffd
	v_cndmask_b32_e32 v18, 0x7c00, v18, vcc_lo
	v_cmp_gt_i32_e32 vcc_lo, 1, v15
	s_wait_alu 0xfffd
	v_cndmask_b32_e32 v17, v21, v17, vcc_lo
	v_cmp_eq_u32_e32 vcc_lo, 0x40f, v20
	v_lshrrev_b32_e32 v20, 16, v10
	s_delay_alu instid0(VALU_DEP_3)
	v_and_b32_e32 v21, 7, v17
	s_wait_alu 0xfffd
	v_cndmask_b32_e32 v18, v18, v9, vcc_lo
	v_cmp_ne_u32_e32 vcc_lo, 0, v4
	v_mul_f64_e32 v[9:10], s[8:9], v[13:14]
	v_bfe_u32 v13, v5, 20, 11
	v_cmp_eq_u32_e64 s0, 3, v21
	v_and_or_b32 v14, 0x8000, v20, v18
	s_wait_alu 0xfffd
	v_cndmask_b32_e64 v4, 0, 1, vcc_lo
	v_cmp_lt_i32_e32 vcc_lo, 5, v21
	v_sub_nc_u32_e32 v18, 0x3f1, v13
	v_add_nc_u32_e32 v13, 0xfffffc10, v13
	v_lshl_or_b32 v14, v14, 16, v16
	v_lshrrev_b32_e32 v16, 2, v17
	v_and_or_b32 v4, 0xffe, v22, v4
	s_or_b32 vcc_lo, s0, vcc_lo
	v_med3_i32 v18, v18, 0, 13
	v_lshrrev_b32_e32 v5, 16, v5
	s_wait_alu 0xfffe
	v_add_co_ci_u32_e32 v16, vcc_lo, 0, v16, vcc_lo
	v_or_b32_e32 v17, 0x1000, v4
	v_cmp_ne_u32_e32 vcc_lo, 0, v2
	v_and_or_b32 v11, 0x1ff, v12, v11
	v_lshrrev_b32_e32 v21, 8, v12
	v_bfe_u32 v22, v12, 20, 11
	v_lshrrev_b32_e32 v20, v18, v17
	s_wait_alu 0xfffd
	v_cndmask_b32_e64 v2, 0, 1, vcc_lo
	v_cmp_gt_i32_e32 vcc_lo, 31, v15
	v_lshrrev_b32_e32 v12, 16, v12
	v_lshlrev_b32_e32 v18, v18, v20
	s_delay_alu instid0(VALU_DEP_4)
	v_lshl_or_b32 v2, v2, 9, 0x7c00
	s_wait_alu 0xfffd
	v_cndmask_b32_e32 v16, 0x7c00, v16, vcc_lo
	v_cmp_ne_u32_e32 vcc_lo, 0, v11
	s_wait_alu 0xfffd
	v_cndmask_b32_e64 v11, 0, 1, vcc_lo
	v_cmp_ne_u32_e32 vcc_lo, v18, v17
	v_sub_nc_u32_e32 v18, 0x3f1, v22
	v_and_or_b32 v9, 0x1ff, v10, v9
	s_delay_alu instid0(VALU_DEP_4)
	v_and_or_b32 v11, 0xffe, v21, v11
	s_wait_alu 0xfffd
	v_cndmask_b32_e64 v17, 0, 1, vcc_lo
	v_cmp_eq_u32_e32 vcc_lo, 0x40f, v15
	v_med3_i32 v18, v18, 0, 13
	v_bfe_u32 v21, v10, 20, 11
	s_delay_alu instid0(VALU_DEP_4)
	v_or_b32_e32 v15, v20, v17
	s_wait_alu 0xfffd
	v_cndmask_b32_e32 v2, v16, v2, vcc_lo
	v_lshl_or_b32 v16, v13, 12, v4
	v_or_b32_e32 v17, 0x1000, v11
	v_cmp_gt_i32_e32 vcc_lo, 1, v13
	v_lshrrev_b32_e32 v20, 8, v10
	v_and_or_b32 v2, 0x8000, v3, v2
	v_lshrrev_b32_e32 v10, 16, v10
	s_wait_alu 0xfffd
	v_cndmask_b32_e32 v15, v16, v15, vcc_lo
	v_lshrrev_b32_e32 v16, v18, v17
	v_cmp_ne_u32_e32 vcc_lo, 0, v9
	s_delay_alu instid0(VALU_DEP_3) | instskip(NEXT) | instid1(VALU_DEP_3)
	v_and_b32_e32 v23, 7, v15
	v_lshlrev_b32_e32 v18, v18, v16
	s_wait_alu 0xfffd
	v_cndmask_b32_e64 v9, 0, 1, vcc_lo
	v_lshrrev_b32_e32 v15, 2, v15
	v_cmp_lt_i32_e32 vcc_lo, 5, v23
	v_cmp_ne_u32_e64 s0, v18, v17
	s_delay_alu instid0(VALU_DEP_4)
	v_and_or_b32 v3, 0xffe, v20, v9
	v_sub_nc_u32_e32 v9, 0x3f1, v21
	v_add_nc_u32_e32 v20, 0xfffffc10, v22
	s_wait_alu 0xf1ff
	v_cndmask_b32_e64 v17, 0, 1, s0
	v_cmp_eq_u32_e64 s0, 3, v23
	v_or_b32_e32 v18, 0x1000, v3
	v_med3_i32 v9, v9, 0, 13
	v_lshl_or_b32 v22, v20, 12, v11
	v_or_b32_e32 v16, v16, v17
	s_or_b32 vcc_lo, s0, vcc_lo
	s_wait_alu 0xfffe
	v_add_co_ci_u32_e32 v15, vcc_lo, 0, v15, vcc_lo
	v_lshrrev_b32_e32 v17, v9, v18
	v_cmp_gt_i32_e32 vcc_lo, 1, v20
	s_wait_alu 0xfffd
	s_delay_alu instid0(VALU_DEP_2) | instskip(SKIP_3) | instid1(VALU_DEP_3)
	v_dual_cndmask_b32 v16, v22, v16 :: v_dual_lshlrev_b32 v9, v9, v17
	v_cmp_ne_u32_e32 vcc_lo, 0, v4
	s_wait_alu 0xfffd
	v_cndmask_b32_e64 v4, 0, 1, vcc_lo
	v_cmp_ne_u32_e32 vcc_lo, v9, v18
	v_add_nc_u32_e32 v18, 0xfffffc10, v21
	v_and_b32_e32 v21, 7, v16
	s_delay_alu instid0(VALU_DEP_4)
	v_lshl_or_b32 v4, v4, 9, 0x7c00
	s_wait_alu 0xfffd
	v_cndmask_b32_e64 v9, 0, 1, vcc_lo
	v_cmp_gt_i32_e32 vcc_lo, 31, v13
	v_cmp_gt_i32_e64 s1, 1, v18
	v_cmp_eq_u32_e64 s0, 3, v21
	s_delay_alu instid0(VALU_DEP_4)
	v_or_b32_e32 v9, v17, v9
	v_lshl_or_b32 v17, v18, 12, v3
	s_wait_alu 0xfffd
	v_cndmask_b32_e32 v15, 0x7c00, v15, vcc_lo
	v_cmp_lt_i32_e32 vcc_lo, 5, v21
	s_wait_alu 0xf1ff
	v_cndmask_b32_e64 v9, v17, v9, s1
	v_cmp_eq_u32_e64 s1, 0x40f, v13
	v_lshrrev_b32_e32 v13, 2, v16
	s_or_b32 vcc_lo, s0, vcc_lo
	s_delay_alu instid0(VALU_DEP_2) | instskip(SKIP_1) | instid1(VALU_DEP_2)
	v_cndmask_b32_e64 v4, v15, v4, s1
	s_wait_alu 0xfffe
	v_add_co_ci_u32_e32 v13, vcc_lo, 0, v13, vcc_lo
	v_and_b32_e32 v15, 7, v9
	v_cmp_ne_u32_e32 vcc_lo, 0, v11
	v_lshrrev_b32_e32 v9, 2, v9
	v_cmp_gt_i32_e64 s1, 31, v20
	v_and_or_b32 v4, 0x8000, v5, v4
	v_cmp_eq_u32_e64 s0, 3, v15
	s_wait_alu 0xfffd
	v_cndmask_b32_e64 v11, 0, 1, vcc_lo
	v_cmp_lt_i32_e32 vcc_lo, 5, v15
	s_wait_alu 0xf1ff
	v_cndmask_b32_e64 v13, 0x7c00, v13, s1
	v_and_b32_e32 v5, 0xffff, v2
	v_lshl_or_b32 v11, v11, 9, 0x7c00
	s_or_b32 vcc_lo, s0, vcc_lo
	s_wait_alu 0xfffe
	v_add_co_ci_u32_e32 v9, vcc_lo, 0, v9, vcc_lo
	v_cmp_ne_u32_e32 vcc_lo, 0, v3
	s_wait_alu 0xfffd
	v_cndmask_b32_e64 v3, 0, 1, vcc_lo
	v_cmp_eq_u32_e32 vcc_lo, 0x40f, v20
	s_delay_alu instid0(VALU_DEP_2) | instskip(SKIP_3) | instid1(VALU_DEP_2)
	v_lshl_or_b32 v3, v3, 9, 0x7c00
	s_wait_alu 0xfffd
	v_cndmask_b32_e32 v11, v13, v11, vcc_lo
	v_cmp_gt_i32_e32 vcc_lo, 31, v18
	v_and_or_b32 v11, 0x8000, v12, v11
	s_wait_alu 0xfffd
	v_cndmask_b32_e32 v9, 0x7c00, v9, vcc_lo
	v_cmp_eq_u32_e32 vcc_lo, 0x40f, v18
	v_lshl_or_b32 v12, v4, 16, v5
	s_wait_alu 0xfffd
	s_delay_alu instid0(VALU_DEP_3) | instskip(SKIP_3) | instid1(VALU_DEP_3)
	v_cndmask_b32_e32 v9, v9, v3, vcc_lo
	v_add_co_u32 v2, vcc_lo, v0, s4
	s_wait_alu 0xfffd
	v_add_co_ci_u32_e32 v3, vcc_lo, s5, v1, vcc_lo
	v_and_or_b32 v9, 0x8000, v10, v9
	v_and_b32_e32 v10, 0xffff, v11
	v_add_co_u32 v4, vcc_lo, v2, s2
	s_wait_alu 0xfffd
	v_add_co_ci_u32_e32 v5, vcc_lo, s3, v3, vcc_lo
	s_delay_alu instid0(VALU_DEP_3) | instskip(NEXT) | instid1(VALU_DEP_3)
	v_lshl_or_b32 v11, v9, 16, v10
	v_add_co_u32 v9, vcc_lo, v4, s2
	s_wait_alu 0xfffd
	s_delay_alu instid0(VALU_DEP_3)
	v_add_co_ci_u32_e32 v10, vcc_lo, s3, v5, vcc_lo
	global_store_b32 v[7:8], v19, off
	global_store_b32 v[0:1], v6, off
	;; [unrolled: 1-line block ×5, first 2 shown]
.LBB0_10:
	s_nop 0
	s_sendmsg sendmsg(MSG_DEALLOC_VGPRS)
	s_endpgm
	.section	.rodata,"a",@progbits
	.p2align	6, 0x0
	.amdhsa_kernel bluestein_single_fwd_len1701_dim1_half_op_CI_CI
		.amdhsa_group_segment_fixed_size 6804
		.amdhsa_private_segment_fixed_size 248
		.amdhsa_kernarg_size 104
		.amdhsa_user_sgpr_count 2
		.amdhsa_user_sgpr_dispatch_ptr 0
		.amdhsa_user_sgpr_queue_ptr 0
		.amdhsa_user_sgpr_kernarg_segment_ptr 1
		.amdhsa_user_sgpr_dispatch_id 0
		.amdhsa_user_sgpr_private_segment_size 0
		.amdhsa_wavefront_size32 1
		.amdhsa_uses_dynamic_stack 0
		.amdhsa_enable_private_segment 1
		.amdhsa_system_sgpr_workgroup_id_x 1
		.amdhsa_system_sgpr_workgroup_id_y 0
		.amdhsa_system_sgpr_workgroup_id_z 0
		.amdhsa_system_sgpr_workgroup_info 0
		.amdhsa_system_vgpr_workitem_id 0
		.amdhsa_next_free_vgpr 256
		.amdhsa_next_free_sgpr 20
		.amdhsa_reserve_vcc 1
		.amdhsa_float_round_mode_32 0
		.amdhsa_float_round_mode_16_64 0
		.amdhsa_float_denorm_mode_32 3
		.amdhsa_float_denorm_mode_16_64 3
		.amdhsa_fp16_overflow 0
		.amdhsa_workgroup_processor_mode 1
		.amdhsa_memory_ordered 1
		.amdhsa_forward_progress 0
		.amdhsa_round_robin_scheduling 0
		.amdhsa_exception_fp_ieee_invalid_op 0
		.amdhsa_exception_fp_denorm_src 0
		.amdhsa_exception_fp_ieee_div_zero 0
		.amdhsa_exception_fp_ieee_overflow 0
		.amdhsa_exception_fp_ieee_underflow 0
		.amdhsa_exception_fp_ieee_inexact 0
		.amdhsa_exception_int_div_zero 0
	.end_amdhsa_kernel
	.text
.Lfunc_end0:
	.size	bluestein_single_fwd_len1701_dim1_half_op_CI_CI, .Lfunc_end0-bluestein_single_fwd_len1701_dim1_half_op_CI_CI
                                        ; -- End function
	.section	.AMDGPU.csdata,"",@progbits
; Kernel info:
; codeLenInByte = 55348
; NumSgprs: 22
; NumVgprs: 256
; ScratchSize: 248
; MemoryBound: 0
; FloatMode: 240
; IeeeMode: 1
; LDSByteSize: 6804 bytes/workgroup (compile time only)
; SGPRBlocks: 2
; VGPRBlocks: 31
; NumSGPRsForWavesPerEU: 22
; NumVGPRsForWavesPerEU: 256
; Occupancy: 5
; WaveLimiterHint : 1
; COMPUTE_PGM_RSRC2:SCRATCH_EN: 1
; COMPUTE_PGM_RSRC2:USER_SGPR: 2
; COMPUTE_PGM_RSRC2:TRAP_HANDLER: 0
; COMPUTE_PGM_RSRC2:TGID_X_EN: 1
; COMPUTE_PGM_RSRC2:TGID_Y_EN: 0
; COMPUTE_PGM_RSRC2:TGID_Z_EN: 0
; COMPUTE_PGM_RSRC2:TIDIG_COMP_CNT: 0
	.text
	.p2alignl 7, 3214868480
	.fill 96, 4, 3214868480
	.type	__hip_cuid_f4d433a5a0c096a3,@object ; @__hip_cuid_f4d433a5a0c096a3
	.section	.bss,"aw",@nobits
	.globl	__hip_cuid_f4d433a5a0c096a3
__hip_cuid_f4d433a5a0c096a3:
	.byte	0                               ; 0x0
	.size	__hip_cuid_f4d433a5a0c096a3, 1

	.ident	"AMD clang version 19.0.0git (https://github.com/RadeonOpenCompute/llvm-project roc-6.4.0 25133 c7fe45cf4b819c5991fe208aaa96edf142730f1d)"
	.section	".note.GNU-stack","",@progbits
	.addrsig
	.addrsig_sym __hip_cuid_f4d433a5a0c096a3
	.amdgpu_metadata
---
amdhsa.kernels:
  - .args:
      - .actual_access:  read_only
        .address_space:  global
        .offset:         0
        .size:           8
        .value_kind:     global_buffer
      - .actual_access:  read_only
        .address_space:  global
        .offset:         8
        .size:           8
        .value_kind:     global_buffer
      - .actual_access:  read_only
        .address_space:  global
        .offset:         16
        .size:           8
        .value_kind:     global_buffer
      - .actual_access:  read_only
        .address_space:  global
        .offset:         24
        .size:           8
        .value_kind:     global_buffer
      - .actual_access:  read_only
        .address_space:  global
        .offset:         32
        .size:           8
        .value_kind:     global_buffer
      - .offset:         40
        .size:           8
        .value_kind:     by_value
      - .address_space:  global
        .offset:         48
        .size:           8
        .value_kind:     global_buffer
      - .address_space:  global
        .offset:         56
        .size:           8
        .value_kind:     global_buffer
      - .address_space:  global
        .offset:         64
        .size:           8
        .value_kind:     global_buffer
      - .address_space:  global
        .offset:         72
        .size:           8
        .value_kind:     global_buffer
      - .offset:         80
        .size:           4
        .value_kind:     by_value
      - .address_space:  global
        .offset:         88
        .size:           8
        .value_kind:     global_buffer
      - .address_space:  global
        .offset:         96
        .size:           8
        .value_kind:     global_buffer
    .group_segment_fixed_size: 6804
    .kernarg_segment_align: 8
    .kernarg_segment_size: 104
    .language:       OpenCL C
    .language_version:
      - 2
      - 0
    .max_flat_workgroup_size: 63
    .name:           bluestein_single_fwd_len1701_dim1_half_op_CI_CI
    .private_segment_fixed_size: 248
    .sgpr_count:     22
    .sgpr_spill_count: 0
    .symbol:         bluestein_single_fwd_len1701_dim1_half_op_CI_CI.kd
    .uniform_work_group_size: 1
    .uses_dynamic_stack: false
    .vgpr_count:     256
    .vgpr_spill_count: 61
    .wavefront_size: 32
    .workgroup_processor_mode: 1
amdhsa.target:   amdgcn-amd-amdhsa--gfx1201
amdhsa.version:
  - 1
  - 2
...

	.end_amdgpu_metadata
